;; amdgpu-corpus repo=ROCm/rocFFT kind=compiled arch=gfx906 opt=O3
	.text
	.amdgcn_target "amdgcn-amd-amdhsa--gfx906"
	.amdhsa_code_object_version 6
	.protected	bluestein_single_fwd_len2016_dim1_half_op_CI_CI ; -- Begin function bluestein_single_fwd_len2016_dim1_half_op_CI_CI
	.globl	bluestein_single_fwd_len2016_dim1_half_op_CI_CI
	.p2align	8
	.type	bluestein_single_fwd_len2016_dim1_half_op_CI_CI,@function
bluestein_single_fwd_len2016_dim1_half_op_CI_CI: ; @bluestein_single_fwd_len2016_dim1_half_op_CI_CI
; %bb.0:
	s_load_dwordx4 s[16:19], s[4:5], 0x28
	v_mul_u32_u24_e32 v1, 0x24a, v0
	v_lshrrev_b32_e32 v1, 16, v1
	v_lshl_add_u32 v12, s6, 1, v1
	v_mov_b32_e32 v13, 0
	s_waitcnt lgkmcnt(0)
	v_cmp_gt_u64_e32 vcc, s[16:17], v[12:13]
	s_and_saveexec_b64 s[0:1], vcc
	s_cbranch_execz .LBB0_10
; %bb.1:
	s_load_dwordx4 s[8:11], s[4:5], 0x18
	s_load_dwordx4 s[12:15], s[4:5], 0x0
	v_mul_lo_u16_e32 v2, 0x70, v1
	v_sub_u16_e32 v67, v0, v2
	v_lshlrev_b32_e32 v8, 2, v67
	s_waitcnt lgkmcnt(0)
	s_load_dwordx4 s[0:3], s[8:9], 0x0
	global_load_dword v68, v8, s[12:13]
	v_or_b32_e32 v51, 0x700, v67
	v_or_b32_e32 v50, 0x380, v67
	v_lshlrev_b32_e32 v80, 2, v51
	s_waitcnt lgkmcnt(0)
	v_mad_u64_u32 v[2:3], s[6:7], s2, v12, 0
	v_mad_u64_u32 v[4:5], s[6:7], s0, v67, 0
	v_mov_b32_e32 v0, v3
	s_mul_hi_u32 s6, s0, 0xfc0
	v_mov_b32_e32 v3, v5
	v_mad_u64_u32 v[5:6], s[2:3], s3, v12, v[0:1]
	v_mad_u64_u32 v[6:7], s[2:3], s1, v67, v[3:4]
	v_mov_b32_e32 v3, v5
	v_lshlrev_b64 v[2:3], 2, v[2:3]
	v_mov_b32_e32 v5, v6
	v_mov_b32_e32 v0, s19
	v_lshlrev_b64 v[4:5], 2, v[4:5]
	v_add_co_u32_e32 v11, vcc, s18, v2
	v_addc_co_u32_e32 v13, vcc, v0, v3, vcc
	v_add_co_u32_e32 v2, vcc, v11, v4
	v_addc_co_u32_e32 v3, vcc, v13, v5, vcc
	v_mov_b32_e32 v4, s13
	v_add_co_u32_e32 v5, vcc, s12, v8
	s_mul_i32 s2, s1, 0xfc0
	v_addc_co_u32_e32 v6, vcc, 0, v4, vcc
	s_add_i32 s6, s6, s2
	s_mul_i32 s3, s0, 0xfc0
	global_load_dword v0, v[2:3], off
	v_mov_b32_e32 v4, s6
	v_add_co_u32_e32 v2, vcc, s3, v2
	v_addc_co_u32_e32 v3, vcc, v3, v4, vcc
	s_mul_hi_u32 s7, s0, 0xfffff200
	global_load_dword v9, v[2:3], off
	global_load_dword v66, v8, s[12:13] offset:4032
	s_mul_i32 s2, s1, 0xfffff200
	s_sub_i32 s16, s7, s0
	s_add_i32 s16, s16, s2
	s_mul_i32 s7, s0, 0xfffff200
	v_mov_b32_e32 v4, s16
	v_add_co_u32_e32 v2, vcc, s7, v2
	v_addc_co_u32_e32 v3, vcc, v3, v4, vcc
	global_load_dword v10, v[2:3], off
	global_load_dword v65, v8, s[12:13] offset:448
	v_mov_b32_e32 v4, s6
	v_add_co_u32_e32 v2, vcc, s3, v2
	v_addc_co_u32_e32 v3, vcc, v3, v4, vcc
	s_movk_i32 s2, 0x1000
	v_add_co_u32_e32 v4, vcc, s2, v5
	global_load_dword v14, v[2:3], off
	v_addc_co_u32_e32 v5, vcc, 0, v6, vcc
	global_load_dword v64, v[4:5], off offset:384
	v_mov_b32_e32 v6, s16
	v_add_co_u32_e32 v2, vcc, s7, v2
	v_addc_co_u32_e32 v3, vcc, v3, v6, vcc
	global_load_dword v15, v[2:3], off
	global_load_dword v63, v8, s[12:13] offset:896
	v_mov_b32_e32 v7, s6
	v_add_co_u32_e32 v6, vcc, s3, v2
	v_addc_co_u32_e32 v7, vcc, v3, v7, vcc
	global_load_dword v2, v[6:7], off
	global_load_dword v62, v[4:5], off offset:832
	v_and_b32_e32 v1, 1, v1
	v_mov_b32_e32 v3, 0x7e0
	v_cmp_eq_u32_e32 vcc, 1, v1
	v_cndmask_b32_e32 v1, 0, v3, vcc
	v_lshlrev_b32_e32 v69, 2, v1
	v_add_u32_e32 v48, v69, v8
	s_load_dwordx4 s[8:11], s[10:11], 0x0
	global_load_dword v60, v8, s[12:13] offset:1344
	global_load_dword v58, v8, s[12:13] offset:1792
	global_load_dword v56, v8, s[12:13] offset:2240
	global_load_dword v55, v8, s[12:13] offset:2688
	global_load_dword v52, v8, s[12:13] offset:3136
	global_load_dword v49, v8, s[12:13] offset:3584
	s_movk_i32 s2, 0x70
	v_lshl_add_u32 v73, v67, 3, v69
	v_lshl_add_u32 v79, v50, 3, v69
	v_and_b32_e32 v39, 3, v67
                                        ; implicit-def: $vgpr150
                                        ; implicit-def: $vgpr153
                                        ; implicit-def: $vgpr151
                                        ; implicit-def: $vgpr154
                                        ; implicit-def: $vgpr152
                                        ; implicit-def: $vgpr155
	s_waitcnt vmcnt(16)
	v_lshrrev_b32_e32 v1, 16, v0
	v_mul_f16_sdwa v3, v68, v0 dst_sel:DWORD dst_unused:UNUSED_PAD src0_sel:WORD_1 src1_sel:DWORD
	v_mul_f16_sdwa v8, v68, v1 dst_sel:DWORD dst_unused:UNUSED_PAD src0_sel:WORD_1 src1_sel:DWORD
	v_fma_f16 v1, v68, v1, -v3
	v_fma_f16 v0, v68, v0, v8
	v_pack_b32_f16 v0, v0, v1
	s_waitcnt vmcnt(15)
	v_lshrrev_b32_e32 v3, 16, v9
	s_waitcnt vmcnt(14)
	v_mul_f16_sdwa v16, v66, v9 dst_sel:DWORD dst_unused:UNUSED_PAD src0_sel:WORD_1 src1_sel:DWORD
	v_mul_f16_sdwa v8, v66, v3 dst_sel:DWORD dst_unused:UNUSED_PAD src0_sel:WORD_1 src1_sel:DWORD
	v_fma_f16 v1, v66, v9, v8
	v_fma_f16 v3, v66, v3, -v16
	v_pack_b32_f16 v1, v1, v3
	ds_write_b32 v48, v1 offset:4032
	v_add_co_u32_e32 v3, vcc, s2, v67
	s_movk_i32 s2, 0xe0
	s_waitcnt vmcnt(13)
	v_lshrrev_b32_e32 v1, 16, v10
	s_waitcnt vmcnt(12)
	v_mul_f16_sdwa v8, v65, v1 dst_sel:DWORD dst_unused:UNUSED_PAD src0_sel:WORD_1 src1_sel:DWORD
	v_mul_f16_sdwa v9, v65, v10 dst_sel:DWORD dst_unused:UNUSED_PAD src0_sel:WORD_1 src1_sel:DWORD
	v_fma_f16 v8, v65, v10, v8
	v_fma_f16 v1, v65, v1, -v9
	v_pack_b32_f16 v1, v8, v1
	ds_write2_b32 v48, v0, v1 offset1:112
	global_load_dword v61, v[4:5], off offset:1280
	global_load_dword v59, v[4:5], off offset:1728
	;; [unrolled: 1-line block ×5, first 2 shown]
	v_mov_b32_e32 v9, s16
	global_load_dword v53, v80, s[12:13]
	s_waitcnt vmcnt(17)
	v_lshrrev_b32_e32 v0, 16, v14
	v_lshl_add_u32 v71, v3, 3, v69
	s_waitcnt vmcnt(16)
	v_mul_f16_sdwa v1, v64, v0 dst_sel:DWORD dst_unused:UNUSED_PAD src0_sel:WORD_1 src1_sel:DWORD
	v_mul_f16_sdwa v4, v64, v14 dst_sel:DWORD dst_unused:UNUSED_PAD src0_sel:WORD_1 src1_sel:DWORD
	v_fma_f16 v1, v64, v14, v1
	v_fma_f16 v0, v64, v0, -v4
	v_pack_b32_f16 v14, v1, v0
	s_waitcnt vmcnt(15)
	v_lshrrev_b32_e32 v1, 16, v15
	s_waitcnt vmcnt(14)
	v_mul_f16_sdwa v4, v63, v1 dst_sel:DWORD dst_unused:UNUSED_PAD src0_sel:WORD_1 src1_sel:DWORD
	v_mul_f16_sdwa v5, v63, v15 dst_sel:DWORD dst_unused:UNUSED_PAD src0_sel:WORD_1 src1_sel:DWORD
	v_fma_f16 v4, v63, v15, v4
	v_fma_f16 v1, v63, v1, -v5
	v_pack_b32_f16 v15, v4, v1
	s_waitcnt vmcnt(13)
	v_lshrrev_b32_e32 v1, 16, v2
	s_waitcnt vmcnt(12)
	v_mul_f16_sdwa v4, v62, v1 dst_sel:DWORD dst_unused:UNUSED_PAD src0_sel:WORD_1 src1_sel:DWORD
	v_fma_f16 v4, v62, v2, v4
	v_mul_f16_sdwa v2, v62, v2 dst_sel:DWORD dst_unused:UNUSED_PAD src0_sel:WORD_1 src1_sel:DWORD
	v_add_co_u32_e32 v0, vcc, s2, v67
	v_fma_f16 v1, v62, v1, -v2
	v_pack_b32_f16 v16, v4, v1
	v_mov_b32_e32 v2, s16
	v_add_co_u32_e32 v4, vcc, s7, v6
	v_addc_co_u32_e32 v5, vcc, v7, v2, vcc
	global_load_dword v17, v[4:5], off
	v_mov_b32_e32 v2, s6
	v_add_co_u32_e32 v4, vcc, s3, v4
	v_addc_co_u32_e32 v5, vcc, v5, v2, vcc
	global_load_dword v18, v[4:5], off
	;; [unrolled: 4-line block ×5, first 2 shown]
	v_mov_b32_e32 v2, s6
	v_add_co_u32_e32 v4, vcc, s3, v4
	v_addc_co_u32_e32 v5, vcc, v5, v2, vcc
	v_mad_u64_u32 v[6:7], s[18:19], s0, v51, 0
	global_load_dword v22, v[4:5], off
	v_mov_b32_e32 v2, s16
	v_add_co_u32_e32 v4, vcc, s7, v4
	v_addc_co_u32_e32 v5, vcc, v5, v2, vcc
	global_load_dword v23, v[4:5], off
	v_mov_b32_e32 v2, s6
	v_add_co_u32_e32 v4, vcc, s3, v4
	v_addc_co_u32_e32 v5, vcc, v5, v2, vcc
	v_mov_b32_e32 v2, v7
	global_load_dword v24, v[4:5], off
	v_mad_u64_u32 v[7:8], s[16:17], s1, v51, v[2:3]
	v_add_co_u32_e32 v4, vcc, s7, v4
	v_addc_co_u32_e32 v5, vcc, v5, v9, vcc
	v_mad_u64_u32 v[8:9], s[6:7], s0, v50, 0
	v_lshlrev_b64 v[6:7], 2, v[6:7]
	global_load_dword v25, v[4:5], off
	v_mov_b32_e32 v2, v9
	v_mad_u64_u32 v[9:10], s[6:7], s1, v50, v[2:3]
	v_add_co_u32_e32 v6, vcc, v11, v6
	v_addc_co_u32_e32 v7, vcc, v13, v7, vcc
	global_load_dword v2, v[6:7], off
	v_lshlrev_b64 v[6:7], 2, v[8:9]
	s_mulk_i32 s1, 0x1180
	v_add_co_u32_e32 v6, vcc, v11, v6
	v_addc_co_u32_e32 v7, vcc, v13, v7, vcc
	global_load_dword v8, v[6:7], off
	v_mov_b32_e32 v6, 0x1180
	v_mad_u64_u32 v[4:5], s[6:7], s0, v6, v[4:5]
	v_add_u32_e32 v1, 0x1000, v48
	ds_write2_b32 v1, v14, v16 offset0:96 offset1:208
	v_add_u32_e32 v5, s1, v5
	global_load_dword v11, v[4:5], off
	s_movk_i32 s0, 0x150
	v_add_co_u32_e32 v10, vcc, s0, v67
	s_waitcnt vmcnt(11)
	v_lshrrev_b32_e32 v4, 16, v17
	v_mul_f16_sdwa v5, v60, v4 dst_sel:DWORD dst_unused:UNUSED_PAD src0_sel:WORD_1 src1_sel:DWORD
	v_mul_f16_sdwa v6, v60, v17 dst_sel:DWORD dst_unused:UNUSED_PAD src0_sel:WORD_1 src1_sel:DWORD
	v_fma_f16 v5, v60, v17, v5
	v_fma_f16 v4, v60, v4, -v6
	v_pack_b32_f16 v5, v5, v4
	v_add_u32_e32 v4, 0x200, v48
	ds_write2_b32 v4, v15, v5 offset0:96 offset1:208
	s_waitcnt vmcnt(10)
	v_lshrrev_b32_e32 v5, 16, v18
	v_mul_f16_sdwa v6, v61, v5 dst_sel:DWORD dst_unused:UNUSED_PAD src0_sel:WORD_1 src1_sel:DWORD
	v_mul_f16_sdwa v7, v61, v18 dst_sel:DWORD dst_unused:UNUSED_PAD src0_sel:WORD_1 src1_sel:DWORD
	v_fma_f16 v6, v61, v18, v6
	v_fma_f16 v5, v61, v5, -v7
	v_pack_b32_f16 v5, v6, v5
	s_waitcnt vmcnt(9)
	v_lshrrev_b32_e32 v6, 16, v19
	v_mul_f16_sdwa v7, v58, v6 dst_sel:DWORD dst_unused:UNUSED_PAD src0_sel:WORD_1 src1_sel:DWORD
	v_mul_f16_sdwa v9, v58, v19 dst_sel:DWORD dst_unused:UNUSED_PAD src0_sel:WORD_1 src1_sel:DWORD
	v_fma_f16 v7, v58, v19, v7
	v_fma_f16 v6, v58, v6, -v9
	v_pack_b32_f16 v6, v7, v6
	;; [unrolled: 7-line block ×3, first 2 shown]
	v_add_u32_e32 v7, 0x1400, v48
	ds_write2_b32 v7, v5, v9 offset0:64 offset1:176
	s_waitcnt vmcnt(7)
	v_lshrrev_b32_e32 v5, 16, v21
	v_mul_f16_sdwa v9, v56, v5 dst_sel:DWORD dst_unused:UNUSED_PAD src0_sel:WORD_1 src1_sel:DWORD
	v_mul_f16_sdwa v13, v56, v21 dst_sel:DWORD dst_unused:UNUSED_PAD src0_sel:WORD_1 src1_sel:DWORD
	v_fma_f16 v9, v56, v21, v9
	v_fma_f16 v5, v56, v5, -v13
	v_pack_b32_f16 v9, v9, v5
	v_add_u32_e32 v5, 0x600, v48
	ds_write2_b32 v5, v6, v9 offset0:64 offset1:176
	s_waitcnt vmcnt(6)
	v_lshrrev_b32_e32 v6, 16, v22
	v_mul_f16_sdwa v9, v57, v6 dst_sel:DWORD dst_unused:UNUSED_PAD src0_sel:WORD_1 src1_sel:DWORD
	v_mul_f16_sdwa v13, v57, v22 dst_sel:DWORD dst_unused:UNUSED_PAD src0_sel:WORD_1 src1_sel:DWORD
	v_fma_f16 v9, v57, v22, v9
	v_fma_f16 v6, v57, v6, -v13
	v_pack_b32_f16 v9, v9, v6
	s_waitcnt vmcnt(5)
	v_lshrrev_b32_e32 v6, 16, v23
	v_mul_f16_sdwa v13, v55, v6 dst_sel:DWORD dst_unused:UNUSED_PAD src0_sel:WORD_1 src1_sel:DWORD
	v_mul_f16_sdwa v14, v55, v23 dst_sel:DWORD dst_unused:UNUSED_PAD src0_sel:WORD_1 src1_sel:DWORD
	v_fma_f16 v13, v55, v23, v13
	v_fma_f16 v6, v55, v6, -v14
	v_pack_b32_f16 v13, v13, v6
	;; [unrolled: 7-line block ×3, first 2 shown]
	v_add_u32_e32 v6, 0x1800, v48
	ds_write2_b32 v6, v9, v14 offset0:32 offset1:144
	s_waitcnt vmcnt(3)
	v_lshrrev_b32_e32 v9, 16, v25
	v_mul_f16_sdwa v14, v52, v9 dst_sel:DWORD dst_unused:UNUSED_PAD src0_sel:WORD_1 src1_sel:DWORD
	v_mul_f16_sdwa v15, v52, v25 dst_sel:DWORD dst_unused:UNUSED_PAD src0_sel:WORD_1 src1_sel:DWORD
	v_fma_f16 v14, v52, v25, v14
	v_fma_f16 v9, v52, v9, -v15
	v_pack_b32_f16 v14, v14, v9
	v_add_u32_e32 v9, 0xa00, v48
	ds_write2_b32 v9, v13, v14 offset0:32 offset1:144
	s_waitcnt vmcnt(2)
	v_lshrrev_b32_e32 v13, 16, v2
	v_mul_f16_sdwa v14, v53, v13 dst_sel:DWORD dst_unused:UNUSED_PAD src0_sel:WORD_1 src1_sel:DWORD
	v_fma_f16 v14, v53, v2, v14
	v_mul_f16_sdwa v2, v53, v2 dst_sel:DWORD dst_unused:UNUSED_PAD src0_sel:WORD_1 src1_sel:DWORD
	v_fma_f16 v2, v53, v13, -v2
	s_waitcnt vmcnt(1)
	v_lshrrev_b32_e32 v13, 16, v8
	v_pack_b32_f16 v2, v14, v2
	v_mul_f16_sdwa v14, v49, v13 dst_sel:DWORD dst_unused:UNUSED_PAD src0_sel:WORD_1 src1_sel:DWORD
	v_fma_f16 v14, v49, v8, v14
	v_mul_f16_sdwa v8, v49, v8 dst_sel:DWORD dst_unused:UNUSED_PAD src0_sel:WORD_1 src1_sel:DWORD
	v_fma_f16 v8, v49, v13, -v8
	v_pack_b32_f16 v8, v14, v8
	ds_write_b32 v48, v8 offset:3584
	s_waitcnt vmcnt(0)
	v_lshrrev_b32_e32 v8, 16, v11
	v_mul_f16_sdwa v13, v47, v8 dst_sel:DWORD dst_unused:UNUSED_PAD src0_sel:WORD_1 src1_sel:DWORD
	v_fma_f16 v13, v47, v11, v13
	v_mul_f16_sdwa v11, v47, v11 dst_sel:DWORD dst_unused:UNUSED_PAD src0_sel:WORD_1 src1_sel:DWORD
	v_fma_f16 v8, v47, v8, -v11
	v_pack_b32_f16 v11, v13, v8
	v_add_u32_e32 v8, 0x1c00, v48
	ds_write2_b32 v8, v2, v11 offset1:112
	s_waitcnt lgkmcnt(0)
	s_barrier
	ds_read2_b32 v[13:14], v48 offset1:112
	v_add_u32_e32 v2, 0xc00, v48
	ds_read2_b32 v[15:16], v1 offset0:96 offset1:208
	ds_read2_b32 v[17:18], v2 offset0:128 offset1:240
	;; [unrolled: 1-line block ×5, first 2 shown]
	s_waitcnt lgkmcnt(4)
	v_pk_add_f16 v23, v14, v15 neg_lo:[0,1] neg_hi:[0,1]
	s_waitcnt lgkmcnt(3)
	v_pk_add_f16 v19, v13, v18 neg_lo:[0,1] neg_hi:[0,1]
	v_pk_fma_f16 v22, v14, 2.0, v23 op_sel_hi:[1,0,1] neg_lo:[0,0,1] neg_hi:[0,0,1]
	s_waitcnt lgkmcnt(2)
	v_pk_add_f16 v14, v20, v16 neg_lo:[0,1] neg_hi:[0,1]
	s_waitcnt lgkmcnt(1)
	v_pk_add_f16 v27, v21, v24 neg_lo:[0,1] neg_hi:[0,1]
	v_pk_fma_f16 v18, v13, 2.0, v19 op_sel_hi:[1,0,1] neg_lo:[0,0,1] neg_hi:[0,0,1]
	ds_read2_b32 v[15:16], v5 offset0:64 offset1:176
	v_pk_fma_f16 v13, v20, 2.0, v14 op_sel_hi:[1,0,1] neg_lo:[0,0,1] neg_hi:[0,0,1]
	v_pk_fma_f16 v26, v21, 2.0, v27 op_sel_hi:[1,0,1] neg_lo:[0,0,1] neg_hi:[0,0,1]
	ds_read2_b32 v[20:21], v6 offset0:32 offset1:144
	ds_read2_b32 v[30:31], v8 offset1:112
	s_movk_i32 s0, 0x1c0
	v_add_co_u32_e32 v11, vcc, s0, v67
	s_movk_i32 s0, 0x230
	s_waitcnt lgkmcnt(2)
	v_pk_add_f16 v25, v15, v25 neg_lo:[0,1] neg_hi:[0,1]
	s_waitcnt lgkmcnt(1)
	v_pk_add_f16 v33, v16, v20 neg_lo:[0,1] neg_hi:[0,1]
	v_pk_fma_f16 v24, v15, 2.0, v25 op_sel_hi:[1,0,1] neg_lo:[0,0,1] neg_hi:[0,0,1]
	v_pk_fma_f16 v32, v16, 2.0, v33 op_sel_hi:[1,0,1] neg_lo:[0,0,1] neg_hi:[0,0,1]
	v_add_co_u32_e32 v15, vcc, s0, v67
	v_lshlrev_b32_e32 v16, 1, v67
	v_lshl_add_u32 v77, v0, 3, v69
	v_pk_add_f16 v21, v28, v21 neg_lo:[0,1] neg_hi:[0,1]
	s_waitcnt lgkmcnt(0)
	v_pk_add_f16 v30, v29, v30 neg_lo:[0,1] neg_hi:[0,1]
	v_pk_add_f16 v35, v17, v31 neg_lo:[0,1] neg_hi:[0,1]
	s_barrier
	ds_write_b64 v73, v[18:19]
	v_lshl_add_u32 v74, v10, 3, v69
	ds_write_b64 v71, v[22:23]
	v_lshl_add_u32 v75, v11, 3, v69
	v_lshl_add_u32 v72, v15, 3, v69
	ds_write_b64 v77, v[13:14]
	v_add_u32_e32 v14, 0x540, v16
	v_add_u32_e32 v13, 0x620, v16
	v_pk_fma_f16 v20, v28, 2.0, v21 op_sel_hi:[1,0,1] neg_lo:[0,0,1] neg_hi:[0,0,1]
	v_pk_fma_f16 v29, v29, 2.0, v30 op_sel_hi:[1,0,1] neg_lo:[0,0,1] neg_hi:[0,0,1]
	;; [unrolled: 1-line block ×3, first 2 shown]
	v_lshl_add_u32 v76, v14, 2, v69
	ds_write_b64 v74, v[26:27]
	v_lshl_add_u32 v78, v13, 2, v69
	ds_write_b64 v75, v[24:25]
	ds_write_b64 v72, v[32:33]
	;; [unrolled: 1-line block ×5, first 2 shown]
	v_and_b32_e32 v35, 1, v67
	v_lshlrev_b32_e32 v17, 2, v35
	s_waitcnt lgkmcnt(0)
	s_barrier
	global_load_dword v70, v17, s[14:15]
	ds_read2_b32 v[17:18], v48 offset1:112
	ds_read2_b32 v[22:23], v2 offset0:128 offset1:240
	s_movk_i32 s0, 0xfc
	v_and_or_b32 v36, v16, s0, v35
	v_lshl_add_u32 v81, v36, 2, v69
	s_waitcnt lgkmcnt(1)
	v_lshrrev_b32_e32 v19, 16, v17
	s_waitcnt lgkmcnt(0)
	v_lshrrev_b32_e32 v20, 16, v23
	s_movk_i32 s0, 0x1fc
	s_movk_i32 s1, 0x5fc
	;; [unrolled: 1-line block ×3, first 2 shown]
	s_waitcnt vmcnt(0)
	v_mul_f16_sdwa v21, v23, v70 dst_sel:DWORD dst_unused:UNUSED_PAD src0_sel:DWORD src1_sel:WORD_1
	v_fma_f16 v21, v20, v70, v21
	v_mul_f16_sdwa v20, v20, v70 dst_sel:DWORD dst_unused:UNUSED_PAD src0_sel:DWORD src1_sel:WORD_1
	v_fma_f16 v20, v23, v70, -v20
	v_sub_f16_e32 v20, v17, v20
	v_sub_f16_e32 v21, v19, v21
	v_fma_f16 v19, v19, 2.0, -v21
	v_fma_f16 v17, v17, 2.0, -v20
	v_pack_b32_f16 v17, v17, v19
	v_pack_b32_f16 v21, v20, v21
	ds_read2_b32 v[19:20], v1 offset0:96 offset1:208
	ds_read2_b32 v[23:24], v4 offset0:96 offset1:208
	;; [unrolled: 1-line block ×6, first 2 shown]
	ds_read2_b32 v[33:34], v8 offset1:112
	s_waitcnt lgkmcnt(0)
	s_barrier
	ds_write2_b32 v81, v17, v21 offset1:2
	v_lshrrev_b32_e32 v17, 16, v19
	v_mul_f16_sdwa v21, v19, v70 dst_sel:DWORD dst_unused:UNUSED_PAD src0_sel:DWORD src1_sel:WORD_1
	v_fma_f16 v21, v17, v70, v21
	v_mul_f16_sdwa v17, v17, v70 dst_sel:DWORD dst_unused:UNUSED_PAD src0_sel:DWORD src1_sel:WORD_1
	v_fma_f16 v17, v19, v70, -v17
	v_lshrrev_b32_e32 v19, 16, v18
	v_sub_f16_e32 v17, v18, v17
	v_sub_f16_e32 v21, v19, v21
	v_fma_f16 v18, v18, 2.0, -v17
	v_fma_f16 v19, v19, 2.0, -v21
	v_pack_b32_f16 v18, v18, v19
	v_pack_b32_f16 v19, v17, v21
	v_lshlrev_b32_e32 v17, 1, v3
	v_and_or_b32 v21, v17, s0, v35
	v_lshl_add_u32 v82, v21, 2, v69
	ds_write2_b32 v82, v18, v19 offset1:2
	v_lshrrev_b32_e32 v18, 16, v20
	v_mul_f16_sdwa v19, v18, v70 dst_sel:DWORD dst_unused:UNUSED_PAD src0_sel:DWORD src1_sel:WORD_1
	v_fma_f16 v19, v20, v70, -v19
	v_mul_f16_sdwa v20, v20, v70 dst_sel:DWORD dst_unused:UNUSED_PAD src0_sel:DWORD src1_sel:WORD_1
	v_fma_f16 v18, v18, v70, v20
	v_lshrrev_b32_e32 v20, 16, v23
	v_sub_f16_e32 v19, v23, v19
	v_sub_f16_e32 v18, v20, v18
	v_fma_f16 v20, v20, 2.0, -v18
	v_fma_f16 v21, v23, 2.0, -v19
	v_pack_b32_f16 v19, v19, v18
	s_movk_i32 s0, 0x3fc
	v_lshlrev_b32_e32 v18, 1, v0
	v_pack_b32_f16 v20, v21, v20
	v_and_or_b32 v21, v18, s0, v35
	v_lshl_add_u32 v83, v21, 2, v69
	ds_write2_b32 v83, v20, v19 offset1:2
	v_lshrrev_b32_e32 v19, 16, v25
	v_mul_f16_sdwa v20, v25, v70 dst_sel:DWORD dst_unused:UNUSED_PAD src0_sel:DWORD src1_sel:WORD_1
	v_fma_f16 v20, v19, v70, v20
	v_mul_f16_sdwa v19, v19, v70 dst_sel:DWORD dst_unused:UNUSED_PAD src0_sel:DWORD src1_sel:WORD_1
	v_fma_f16 v19, v25, v70, -v19
	v_lshrrev_b32_e32 v21, 16, v24
	v_sub_f16_e32 v19, v24, v19
	v_sub_f16_e32 v20, v21, v20
	v_fma_f16 v23, v24, 2.0, -v19
	v_fma_f16 v21, v21, 2.0, -v20
	v_pack_b32_f16 v20, v19, v20
	v_lshlrev_b32_e32 v19, 1, v10
	v_pack_b32_f16 v21, v23, v21
	v_and_or_b32 v23, v19, s0, v35
	v_lshl_add_u32 v84, v23, 2, v69
	ds_write2_b32 v84, v21, v20 offset1:2
	v_lshrrev_b32_e32 v20, 16, v26
	v_mul_f16_sdwa v21, v20, v70 dst_sel:DWORD dst_unused:UNUSED_PAD src0_sel:DWORD src1_sel:WORD_1
	v_mul_f16_sdwa v23, v26, v70 dst_sel:DWORD dst_unused:UNUSED_PAD src0_sel:DWORD src1_sel:WORD_1
	v_fma_f16 v21, v26, v70, -v21
	v_fma_f16 v20, v20, v70, v23
	v_lshrrev_b32_e32 v23, 16, v27
	v_sub_f16_e32 v21, v27, v21
	v_sub_f16_e32 v20, v23, v20
	v_fma_f16 v23, v23, 2.0, -v20
	v_fma_f16 v24, v27, 2.0, -v21
	v_pack_b32_f16 v21, v21, v20
	s_movk_i32 s0, 0x7fc
	v_lshlrev_b32_e32 v20, 1, v11
	v_pack_b32_f16 v23, v24, v23
	v_and_or_b32 v24, v20, s0, v35
	v_lshl_add_u32 v85, v24, 2, v69
	ds_write2_b32 v85, v23, v21 offset1:2
	v_lshrrev_b32_e32 v21, 16, v29
	v_mul_f16_sdwa v23, v29, v70 dst_sel:DWORD dst_unused:UNUSED_PAD src0_sel:DWORD src1_sel:WORD_1
	v_fma_f16 v23, v21, v70, v23
	v_mul_f16_sdwa v21, v21, v70 dst_sel:DWORD dst_unused:UNUSED_PAD src0_sel:DWORD src1_sel:WORD_1
	v_fma_f16 v21, v29, v70, -v21
	v_lshrrev_b32_e32 v24, 16, v28
	v_sub_f16_e32 v21, v28, v21
	v_sub_f16_e32 v23, v24, v23
	v_fma_f16 v25, v28, 2.0, -v21
	v_fma_f16 v24, v24, 2.0, -v23
	v_pack_b32_f16 v23, v21, v23
	v_lshlrev_b32_e32 v21, 1, v15
	v_pack_b32_f16 v24, v25, v24
	v_and_or_b32 v25, v21, s1, v35
	v_lshl_add_u32 v87, v25, 2, v69
	ds_write2_b32 v87, v24, v23 offset1:2
	v_lshrrev_b32_e32 v23, 16, v30
	v_mul_f16_sdwa v24, v23, v70 dst_sel:DWORD dst_unused:UNUSED_PAD src0_sel:DWORD src1_sel:WORD_1
	v_mul_f16_sdwa v25, v30, v70 dst_sel:DWORD dst_unused:UNUSED_PAD src0_sel:DWORD src1_sel:WORD_1
	v_fma_f16 v24, v30, v70, -v24
	v_fma_f16 v23, v23, v70, v25
	v_lshrrev_b32_e32 v25, 16, v31
	v_sub_f16_e32 v24, v31, v24
	v_sub_f16_e32 v23, v25, v23
	v_fma_f16 v25, v25, 2.0, -v23
	v_fma_f16 v26, v31, 2.0, -v24
	v_pack_b32_f16 v23, v24, v23
	v_and_or_b32 v24, v14, s0, v35
	v_pack_b32_f16 v25, v26, v25
	v_lshl_add_u32 v88, v24, 2, v69
	ds_write2_b32 v88, v25, v23 offset1:2
	v_lshrrev_b32_e32 v23, 16, v33
	v_mul_f16_sdwa v24, v33, v70 dst_sel:DWORD dst_unused:UNUSED_PAD src0_sel:DWORD src1_sel:WORD_1
	v_fma_f16 v24, v23, v70, v24
	v_mul_f16_sdwa v23, v23, v70 dst_sel:DWORD dst_unused:UNUSED_PAD src0_sel:DWORD src1_sel:WORD_1
	v_fma_f16 v23, v33, v70, -v23
	v_lshrrev_b32_e32 v25, 16, v32
	v_sub_f16_e32 v23, v32, v23
	v_sub_f16_e32 v24, v25, v24
	v_fma_f16 v26, v32, 2.0, -v23
	v_fma_f16 v25, v25, 2.0, -v24
	v_pack_b32_f16 v23, v23, v24
	v_and_or_b32 v24, v13, s0, v35
	v_pack_b32_f16 v25, v26, v25
	v_lshl_add_u32 v89, v24, 2, v69
	ds_write2_b32 v89, v25, v23 offset1:2
	v_lshrrev_b32_e32 v23, 16, v34
	v_mul_f16_sdwa v24, v23, v70 dst_sel:DWORD dst_unused:UNUSED_PAD src0_sel:DWORD src1_sel:WORD_1
	v_mul_f16_sdwa v25, v34, v70 dst_sel:DWORD dst_unused:UNUSED_PAD src0_sel:DWORD src1_sel:WORD_1
	v_fma_f16 v24, v34, v70, -v24
	v_fma_f16 v23, v23, v70, v25
	v_lshrrev_b32_e32 v25, 16, v22
	v_sub_f16_e32 v24, v22, v24
	v_sub_f16_e32 v23, v25, v23
	v_fma_f16 v22, v22, 2.0, -v24
	v_fma_f16 v25, v25, 2.0, -v23
	v_pack_b32_f16 v25, v22, v25
	v_lshlrev_b32_e32 v22, 1, v50
	v_pack_b32_f16 v23, v24, v23
	v_and_or_b32 v24, v22, s0, v35
	v_lshl_add_u32 v90, v24, 2, v69
	ds_write2_b32 v90, v25, v23 offset1:2
	v_lshlrev_b32_e32 v23, 2, v39
	s_waitcnt lgkmcnt(0)
	s_barrier
	global_load_dword v86, v23, s[14:15] offset:8
	ds_read2_b32 v[23:24], v2 offset0:128 offset1:240
	ds_read2_b32 v[25:26], v48 offset1:112
	s_movk_i32 s0, 0xf8
	v_and_or_b32 v42, v16, s0, v39
	v_lshl_add_u32 v91, v42, 2, v69
	s_waitcnt lgkmcnt(1)
	v_lshrrev_b32_e32 v27, 16, v24
	s_movk_i32 s0, 0x1f8
	s_movk_i32 s1, 0x5f8
	s_waitcnt vmcnt(0)
	v_mul_f16_sdwa v28, v24, v86 dst_sel:DWORD dst_unused:UNUSED_PAD src0_sel:DWORD src1_sel:WORD_1
	v_fma_f16 v28, v27, v86, v28
	v_mul_f16_sdwa v27, v27, v86 dst_sel:DWORD dst_unused:UNUSED_PAD src0_sel:DWORD src1_sel:WORD_1
	v_fma_f16 v24, v24, v86, -v27
	s_waitcnt lgkmcnt(0)
	v_lshrrev_b32_e32 v27, 16, v25
	v_sub_f16_e32 v24, v25, v24
	v_sub_f16_e32 v28, v27, v28
	v_fma_f16 v27, v27, 2.0, -v28
	v_fma_f16 v25, v25, 2.0, -v24
	v_pack_b32_f16 v40, v25, v27
	v_pack_b32_f16 v41, v24, v28
	ds_read2_b32 v[24:25], v1 offset0:96 offset1:208
	ds_read2_b32 v[27:28], v4 offset0:96 offset1:208
	;; [unrolled: 1-line block ×6, first 2 shown]
	ds_read2_b32 v[37:38], v8 offset1:112
	s_waitcnt lgkmcnt(0)
	s_barrier
	ds_write2_b32 v91, v40, v41 offset1:4
	v_lshrrev_b32_e32 v40, 16, v24
	v_mul_f16_sdwa v41, v24, v86 dst_sel:DWORD dst_unused:UNUSED_PAD src0_sel:DWORD src1_sel:WORD_1
	v_fma_f16 v41, v40, v86, v41
	v_mul_f16_sdwa v40, v40, v86 dst_sel:DWORD dst_unused:UNUSED_PAD src0_sel:DWORD src1_sel:WORD_1
	v_fma_f16 v24, v24, v86, -v40
	v_lshrrev_b32_e32 v40, 16, v26
	v_sub_f16_e32 v24, v26, v24
	v_sub_f16_e32 v41, v40, v41
	v_fma_f16 v26, v26, 2.0, -v24
	v_fma_f16 v40, v40, 2.0, -v41
	v_pack_b32_f16 v26, v26, v40
	v_and_or_b32 v40, v17, s0, v39
	v_pack_b32_f16 v24, v24, v41
	v_lshl_add_u32 v92, v40, 2, v69
	ds_write2_b32 v92, v26, v24 offset1:4
	v_lshrrev_b32_e32 v24, 16, v25
	v_mul_f16_sdwa v26, v24, v86 dst_sel:DWORD dst_unused:UNUSED_PAD src0_sel:DWORD src1_sel:WORD_1
	v_fma_f16 v26, v25, v86, -v26
	v_mul_f16_sdwa v25, v25, v86 dst_sel:DWORD dst_unused:UNUSED_PAD src0_sel:DWORD src1_sel:WORD_1
	v_fma_f16 v24, v24, v86, v25
	v_sub_f16_e32 v25, v27, v26
	v_lshrrev_b32_e32 v26, 16, v27
	v_sub_f16_e32 v24, v26, v24
	s_movk_i32 s0, 0x3f8
	v_fma_f16 v26, v26, 2.0, -v24
	v_fma_f16 v27, v27, 2.0, -v25
	v_pack_b32_f16 v24, v25, v24
	v_and_or_b32 v25, v18, s0, v39
	v_pack_b32_f16 v26, v27, v26
	v_lshl_add_u32 v93, v25, 2, v69
	ds_write2_b32 v93, v26, v24 offset1:4
	v_lshrrev_b32_e32 v24, 16, v29
	v_mul_f16_sdwa v25, v29, v86 dst_sel:DWORD dst_unused:UNUSED_PAD src0_sel:DWORD src1_sel:WORD_1
	v_fma_f16 v25, v24, v86, v25
	v_mul_f16_sdwa v24, v24, v86 dst_sel:DWORD dst_unused:UNUSED_PAD src0_sel:DWORD src1_sel:WORD_1
	v_fma_f16 v24, v29, v86, -v24
	v_lshrrev_b32_e32 v26, 16, v28
	v_sub_f16_e32 v24, v28, v24
	v_sub_f16_e32 v25, v26, v25
	v_fma_f16 v27, v28, 2.0, -v24
	v_fma_f16 v26, v26, 2.0, -v25
	v_pack_b32_f16 v24, v24, v25
	v_and_or_b32 v25, v19, s0, v39
	v_pack_b32_f16 v26, v27, v26
	v_lshl_add_u32 v94, v25, 2, v69
	ds_write2_b32 v94, v26, v24 offset1:4
	v_lshrrev_b32_e32 v24, 16, v30
	v_mul_f16_sdwa v25, v24, v86 dst_sel:DWORD dst_unused:UNUSED_PAD src0_sel:DWORD src1_sel:WORD_1
	v_mul_f16_sdwa v26, v30, v86 dst_sel:DWORD dst_unused:UNUSED_PAD src0_sel:DWORD src1_sel:WORD_1
	v_fma_f16 v25, v30, v86, -v25
	v_fma_f16 v24, v24, v86, v26
	v_lshrrev_b32_e32 v26, 16, v31
	v_sub_f16_e32 v25, v31, v25
	v_sub_f16_e32 v24, v26, v24
	s_movk_i32 s0, 0x7f8
	v_fma_f16 v26, v26, 2.0, -v24
	v_fma_f16 v27, v31, 2.0, -v25
	v_pack_b32_f16 v24, v25, v24
	v_and_or_b32 v25, v20, s0, v39
	v_pack_b32_f16 v26, v27, v26
	v_lshl_add_u32 v95, v25, 2, v69
	ds_write2_b32 v95, v26, v24 offset1:4
	v_lshrrev_b32_e32 v24, 16, v33
	v_mul_f16_sdwa v25, v33, v86 dst_sel:DWORD dst_unused:UNUSED_PAD src0_sel:DWORD src1_sel:WORD_1
	v_fma_f16 v25, v24, v86, v25
	v_mul_f16_sdwa v24, v24, v86 dst_sel:DWORD dst_unused:UNUSED_PAD src0_sel:DWORD src1_sel:WORD_1
	v_fma_f16 v24, v33, v86, -v24
	v_lshrrev_b32_e32 v26, 16, v32
	v_sub_f16_e32 v24, v32, v24
	v_sub_f16_e32 v25, v26, v25
	v_fma_f16 v27, v32, 2.0, -v24
	v_fma_f16 v26, v26, 2.0, -v25
	v_pack_b32_f16 v24, v24, v25
	v_and_or_b32 v25, v21, s1, v39
	v_pack_b32_f16 v26, v27, v26
	v_lshl_add_u32 v97, v25, 2, v69
	ds_write2_b32 v97, v26, v24 offset1:4
	v_lshrrev_b32_e32 v24, 16, v34
	v_mul_f16_sdwa v25, v24, v86 dst_sel:DWORD dst_unused:UNUSED_PAD src0_sel:DWORD src1_sel:WORD_1
	v_mul_f16_sdwa v26, v34, v86 dst_sel:DWORD dst_unused:UNUSED_PAD src0_sel:DWORD src1_sel:WORD_1
	v_fma_f16 v25, v34, v86, -v25
	v_fma_f16 v24, v24, v86, v26
	v_lshrrev_b32_e32 v26, 16, v35
	v_sub_f16_e32 v25, v35, v25
	v_sub_f16_e32 v24, v26, v24
	v_fma_f16 v26, v26, 2.0, -v24
	v_fma_f16 v27, v35, 2.0, -v25
	v_pack_b32_f16 v24, v25, v24
	v_and_or_b32 v25, v14, s0, v39
	v_pack_b32_f16 v26, v27, v26
	v_lshl_add_u32 v98, v25, 2, v69
	ds_write2_b32 v98, v26, v24 offset1:4
	v_lshrrev_b32_e32 v24, 16, v37
	v_mul_f16_sdwa v25, v37, v86 dst_sel:DWORD dst_unused:UNUSED_PAD src0_sel:DWORD src1_sel:WORD_1
	v_fma_f16 v25, v24, v86, v25
	v_mul_f16_sdwa v24, v24, v86 dst_sel:DWORD dst_unused:UNUSED_PAD src0_sel:DWORD src1_sel:WORD_1
	v_fma_f16 v24, v37, v86, -v24
	v_lshrrev_b32_e32 v26, 16, v36
	v_sub_f16_e32 v24, v36, v24
	v_sub_f16_e32 v25, v26, v25
	v_fma_f16 v27, v36, 2.0, -v24
	v_fma_f16 v26, v26, 2.0, -v25
	v_pack_b32_f16 v24, v24, v25
	v_and_or_b32 v25, v13, s0, v39
	v_pack_b32_f16 v26, v27, v26
	v_lshl_add_u32 v99, v25, 2, v69
	ds_write2_b32 v99, v26, v24 offset1:4
	v_lshrrev_b32_e32 v24, 16, v38
	v_mul_f16_sdwa v25, v24, v86 dst_sel:DWORD dst_unused:UNUSED_PAD src0_sel:DWORD src1_sel:WORD_1
	v_mul_f16_sdwa v26, v38, v86 dst_sel:DWORD dst_unused:UNUSED_PAD src0_sel:DWORD src1_sel:WORD_1
	v_fma_f16 v25, v38, v86, -v25
	v_fma_f16 v24, v24, v86, v26
	v_lshrrev_b32_e32 v26, 16, v23
	v_sub_f16_e32 v25, v23, v25
	v_sub_f16_e32 v24, v26, v24
	v_fma_f16 v23, v23, 2.0, -v25
	v_fma_f16 v26, v26, 2.0, -v24
	v_pack_b32_f16 v24, v25, v24
	v_and_or_b32 v25, v22, s0, v39
	v_pack_b32_f16 v23, v23, v26
	v_lshl_add_u32 v100, v25, 2, v69
	v_and_b32_e32 v39, 7, v67
	ds_write2_b32 v100, v23, v24 offset1:4
	v_lshlrev_b32_e32 v23, 2, v39
	s_waitcnt lgkmcnt(0)
	s_barrier
	global_load_dword v96, v23, s[14:15] offset:24
	ds_read2_b32 v[23:24], v2 offset0:128 offset1:240
	ds_read2_b32 v[25:26], v48 offset1:112
	s_movk_i32 s0, 0xf0
	v_and_or_b32 v42, v16, s0, v39
	v_lshl_add_u32 v101, v42, 2, v69
	s_waitcnt lgkmcnt(1)
	v_lshrrev_b32_e32 v27, 16, v24
	s_movk_i32 s0, 0x1f0
	s_movk_i32 s1, 0x5f0
	s_waitcnt vmcnt(0)
	v_mul_f16_sdwa v28, v24, v96 dst_sel:DWORD dst_unused:UNUSED_PAD src0_sel:DWORD src1_sel:WORD_1
	v_fma_f16 v28, v27, v96, v28
	v_mul_f16_sdwa v27, v27, v96 dst_sel:DWORD dst_unused:UNUSED_PAD src0_sel:DWORD src1_sel:WORD_1
	v_fma_f16 v24, v24, v96, -v27
	s_waitcnt lgkmcnt(0)
	v_lshrrev_b32_e32 v27, 16, v25
	v_sub_f16_e32 v24, v25, v24
	v_sub_f16_e32 v28, v27, v28
	v_fma_f16 v27, v27, 2.0, -v28
	v_fma_f16 v25, v25, 2.0, -v24
	v_pack_b32_f16 v40, v25, v27
	v_pack_b32_f16 v41, v24, v28
	ds_read2_b32 v[24:25], v1 offset0:96 offset1:208
	ds_read2_b32 v[27:28], v4 offset0:96 offset1:208
	;; [unrolled: 1-line block ×6, first 2 shown]
	ds_read2_b32 v[37:38], v8 offset1:112
	s_waitcnt lgkmcnt(0)
	s_barrier
	ds_write2_b32 v101, v40, v41 offset1:8
	v_lshrrev_b32_e32 v40, 16, v24
	v_mul_f16_sdwa v41, v24, v96 dst_sel:DWORD dst_unused:UNUSED_PAD src0_sel:DWORD src1_sel:WORD_1
	v_fma_f16 v41, v40, v96, v41
	v_mul_f16_sdwa v40, v40, v96 dst_sel:DWORD dst_unused:UNUSED_PAD src0_sel:DWORD src1_sel:WORD_1
	v_fma_f16 v24, v24, v96, -v40
	v_lshrrev_b32_e32 v40, 16, v26
	v_sub_f16_e32 v24, v26, v24
	v_sub_f16_e32 v41, v40, v41
	v_fma_f16 v26, v26, 2.0, -v24
	v_fma_f16 v40, v40, 2.0, -v41
	v_pack_b32_f16 v26, v26, v40
	v_and_or_b32 v40, v17, s0, v39
	v_pack_b32_f16 v24, v24, v41
	v_lshl_add_u32 v102, v40, 2, v69
	ds_write2_b32 v102, v26, v24 offset1:8
	v_lshrrev_b32_e32 v24, 16, v25
	v_mul_f16_sdwa v26, v24, v96 dst_sel:DWORD dst_unused:UNUSED_PAD src0_sel:DWORD src1_sel:WORD_1
	v_fma_f16 v26, v25, v96, -v26
	v_mul_f16_sdwa v25, v25, v96 dst_sel:DWORD dst_unused:UNUSED_PAD src0_sel:DWORD src1_sel:WORD_1
	v_fma_f16 v24, v24, v96, v25
	v_sub_f16_e32 v25, v27, v26
	v_lshrrev_b32_e32 v26, 16, v27
	v_sub_f16_e32 v24, v26, v24
	s_movk_i32 s0, 0x3f0
	v_fma_f16 v26, v26, 2.0, -v24
	v_fma_f16 v27, v27, 2.0, -v25
	v_pack_b32_f16 v24, v25, v24
	v_and_or_b32 v25, v18, s0, v39
	v_pack_b32_f16 v26, v27, v26
	v_lshl_add_u32 v103, v25, 2, v69
	ds_write2_b32 v103, v26, v24 offset1:8
	v_lshrrev_b32_e32 v24, 16, v29
	v_mul_f16_sdwa v25, v29, v96 dst_sel:DWORD dst_unused:UNUSED_PAD src0_sel:DWORD src1_sel:WORD_1
	v_fma_f16 v25, v24, v96, v25
	v_mul_f16_sdwa v24, v24, v96 dst_sel:DWORD dst_unused:UNUSED_PAD src0_sel:DWORD src1_sel:WORD_1
	v_fma_f16 v24, v29, v96, -v24
	v_lshrrev_b32_e32 v26, 16, v28
	v_sub_f16_e32 v24, v28, v24
	v_sub_f16_e32 v25, v26, v25
	v_fma_f16 v27, v28, 2.0, -v24
	v_fma_f16 v26, v26, 2.0, -v25
	v_pack_b32_f16 v24, v24, v25
	v_and_or_b32 v25, v19, s0, v39
	v_pack_b32_f16 v26, v27, v26
	v_lshl_add_u32 v104, v25, 2, v69
	ds_write2_b32 v104, v26, v24 offset1:8
	v_lshrrev_b32_e32 v24, 16, v30
	v_mul_f16_sdwa v25, v24, v96 dst_sel:DWORD dst_unused:UNUSED_PAD src0_sel:DWORD src1_sel:WORD_1
	v_mul_f16_sdwa v26, v30, v96 dst_sel:DWORD dst_unused:UNUSED_PAD src0_sel:DWORD src1_sel:WORD_1
	v_fma_f16 v25, v30, v96, -v25
	v_fma_f16 v24, v24, v96, v26
	v_lshrrev_b32_e32 v26, 16, v31
	v_sub_f16_e32 v25, v31, v25
	v_sub_f16_e32 v24, v26, v24
	s_movk_i32 s0, 0x7f0
	v_fma_f16 v26, v26, 2.0, -v24
	v_fma_f16 v27, v31, 2.0, -v25
	v_pack_b32_f16 v24, v25, v24
	v_and_or_b32 v25, v20, s0, v39
	v_pack_b32_f16 v26, v27, v26
	v_lshl_add_u32 v105, v25, 2, v69
	ds_write2_b32 v105, v26, v24 offset1:8
	v_lshrrev_b32_e32 v24, 16, v33
	v_mul_f16_sdwa v25, v33, v96 dst_sel:DWORD dst_unused:UNUSED_PAD src0_sel:DWORD src1_sel:WORD_1
	v_fma_f16 v25, v24, v96, v25
	v_mul_f16_sdwa v24, v24, v96 dst_sel:DWORD dst_unused:UNUSED_PAD src0_sel:DWORD src1_sel:WORD_1
	v_fma_f16 v24, v33, v96, -v24
	v_lshrrev_b32_e32 v26, 16, v32
	v_sub_f16_e32 v24, v32, v24
	v_sub_f16_e32 v25, v26, v25
	v_fma_f16 v27, v32, 2.0, -v24
	v_fma_f16 v26, v26, 2.0, -v25
	v_pack_b32_f16 v24, v24, v25
	v_and_or_b32 v25, v21, s1, v39
	v_pack_b32_f16 v26, v27, v26
	v_lshl_add_u32 v107, v25, 2, v69
	ds_write2_b32 v107, v26, v24 offset1:8
	v_lshrrev_b32_e32 v24, 16, v34
	v_mul_f16_sdwa v25, v24, v96 dst_sel:DWORD dst_unused:UNUSED_PAD src0_sel:DWORD src1_sel:WORD_1
	v_mul_f16_sdwa v26, v34, v96 dst_sel:DWORD dst_unused:UNUSED_PAD src0_sel:DWORD src1_sel:WORD_1
	v_fma_f16 v25, v34, v96, -v25
	v_fma_f16 v24, v24, v96, v26
	v_lshrrev_b32_e32 v26, 16, v35
	v_sub_f16_e32 v25, v35, v25
	v_sub_f16_e32 v24, v26, v24
	v_fma_f16 v26, v26, 2.0, -v24
	v_fma_f16 v27, v35, 2.0, -v25
	v_pack_b32_f16 v24, v25, v24
	v_and_or_b32 v25, v14, s0, v39
	v_pack_b32_f16 v26, v27, v26
	v_lshl_add_u32 v108, v25, 2, v69
	ds_write2_b32 v108, v26, v24 offset1:8
	v_lshrrev_b32_e32 v24, 16, v37
	v_mul_f16_sdwa v25, v37, v96 dst_sel:DWORD dst_unused:UNUSED_PAD src0_sel:DWORD src1_sel:WORD_1
	v_fma_f16 v25, v24, v96, v25
	v_mul_f16_sdwa v24, v24, v96 dst_sel:DWORD dst_unused:UNUSED_PAD src0_sel:DWORD src1_sel:WORD_1
	v_fma_f16 v24, v37, v96, -v24
	v_lshrrev_b32_e32 v26, 16, v36
	v_sub_f16_e32 v24, v36, v24
	v_sub_f16_e32 v25, v26, v25
	v_fma_f16 v27, v36, 2.0, -v24
	v_fma_f16 v26, v26, 2.0, -v25
	v_pack_b32_f16 v24, v24, v25
	v_and_or_b32 v25, v13, s0, v39
	v_pack_b32_f16 v26, v27, v26
	v_lshl_add_u32 v109, v25, 2, v69
	ds_write2_b32 v109, v26, v24 offset1:8
	v_lshrrev_b32_e32 v24, 16, v38
	v_mul_f16_sdwa v25, v24, v96 dst_sel:DWORD dst_unused:UNUSED_PAD src0_sel:DWORD src1_sel:WORD_1
	v_mul_f16_sdwa v26, v38, v96 dst_sel:DWORD dst_unused:UNUSED_PAD src0_sel:DWORD src1_sel:WORD_1
	v_fma_f16 v25, v38, v96, -v25
	v_fma_f16 v24, v24, v96, v26
	v_lshrrev_b32_e32 v26, 16, v23
	v_sub_f16_e32 v25, v23, v25
	v_sub_f16_e32 v24, v26, v24
	v_fma_f16 v23, v23, 2.0, -v25
	v_fma_f16 v26, v26, 2.0, -v24
	v_pack_b32_f16 v24, v25, v24
	v_and_or_b32 v25, v22, s0, v39
	v_pack_b32_f16 v23, v23, v26
	v_lshl_add_u32 v110, v25, 2, v69
	v_and_b32_e32 v39, 15, v67
	ds_write2_b32 v110, v23, v24 offset1:8
	v_lshlrev_b32_e32 v23, 2, v39
	s_waitcnt lgkmcnt(0)
	s_barrier
	global_load_dword v106, v23, s[14:15] offset:56
	ds_read2_b32 v[23:24], v2 offset0:128 offset1:240
	ds_read2_b32 v[25:26], v48 offset1:112
	v_and_or_b32 v16, v16, s2, v39
	v_lshl_add_u32 v111, v16, 2, v69
	s_movk_i32 s0, 0x1e0
	s_waitcnt lgkmcnt(1)
	v_lshrrev_b32_e32 v27, 16, v24
	v_and_or_b32 v17, v17, s0, v39
	v_lshl_add_u32 v112, v17, 2, v69
	s_movk_i32 s0, 0x3e0
	s_movk_i32 s1, 0x5e0
	;; [unrolled: 1-line block ×3, first 2 shown]
	s_waitcnt vmcnt(0)
	v_mul_f16_sdwa v28, v24, v106 dst_sel:DWORD dst_unused:UNUSED_PAD src0_sel:DWORD src1_sel:WORD_1
	v_fma_f16 v28, v27, v106, v28
	v_mul_f16_sdwa v27, v27, v106 dst_sel:DWORD dst_unused:UNUSED_PAD src0_sel:DWORD src1_sel:WORD_1
	v_fma_f16 v24, v24, v106, -v27
	s_waitcnt lgkmcnt(0)
	v_lshrrev_b32_e32 v27, 16, v25
	v_sub_f16_e32 v24, v25, v24
	v_sub_f16_e32 v28, v27, v28
	v_fma_f16 v27, v27, 2.0, -v28
	v_fma_f16 v25, v25, 2.0, -v24
	v_pack_b32_f16 v40, v25, v27
	v_pack_b32_f16 v41, v24, v28
	ds_read2_b32 v[24:25], v1 offset0:96 offset1:208
	ds_read2_b32 v[27:28], v4 offset0:96 offset1:208
	ds_read2_b32 v[29:30], v7 offset0:64 offset1:176
	ds_read2_b32 v[31:32], v5 offset0:64 offset1:176
	ds_read2_b32 v[33:34], v6 offset0:32 offset1:144
	ds_read2_b32 v[35:36], v9 offset0:32 offset1:144
	ds_read2_b32 v[37:38], v8 offset1:112
	s_waitcnt lgkmcnt(0)
	s_barrier
	ds_write2_b32 v111, v40, v41 offset1:16
	v_lshrrev_b32_e32 v16, 16, v24
	v_mul_f16_sdwa v40, v24, v106 dst_sel:DWORD dst_unused:UNUSED_PAD src0_sel:DWORD src1_sel:WORD_1
	v_fma_f16 v40, v16, v106, v40
	v_mul_f16_sdwa v16, v16, v106 dst_sel:DWORD dst_unused:UNUSED_PAD src0_sel:DWORD src1_sel:WORD_1
	v_fma_f16 v16, v24, v106, -v16
	v_lshrrev_b32_e32 v24, 16, v26
	v_sub_f16_e32 v16, v26, v16
	v_sub_f16_e32 v40, v24, v40
	v_fma_f16 v26, v26, 2.0, -v16
	v_fma_f16 v24, v24, 2.0, -v40
	v_pack_b32_f16 v24, v26, v24
	v_pack_b32_f16 v16, v16, v40
	ds_write2_b32 v112, v24, v16 offset1:16
	v_lshrrev_b32_e32 v16, 16, v25
	v_mul_f16_sdwa v17, v16, v106 dst_sel:DWORD dst_unused:UNUSED_PAD src0_sel:DWORD src1_sel:WORD_1
	v_mul_f16_sdwa v24, v25, v106 dst_sel:DWORD dst_unused:UNUSED_PAD src0_sel:DWORD src1_sel:WORD_1
	v_fma_f16 v17, v25, v106, -v17
	v_fma_f16 v16, v16, v106, v24
	v_lshrrev_b32_e32 v24, 16, v27
	v_sub_f16_e32 v17, v27, v17
	v_sub_f16_e32 v16, v24, v16
	v_fma_f16 v24, v24, 2.0, -v16
	v_fma_f16 v25, v27, 2.0, -v17
	v_pack_b32_f16 v16, v17, v16
	v_and_or_b32 v17, v18, s0, v39
	v_pack_b32_f16 v24, v25, v24
	v_lshl_add_u32 v113, v17, 2, v69
	ds_write2_b32 v113, v24, v16 offset1:16
	v_lshrrev_b32_e32 v16, 16, v29
	v_mul_f16_sdwa v17, v29, v106 dst_sel:DWORD dst_unused:UNUSED_PAD src0_sel:DWORD src1_sel:WORD_1
	v_fma_f16 v17, v16, v106, v17
	v_mul_f16_sdwa v16, v16, v106 dst_sel:DWORD dst_unused:UNUSED_PAD src0_sel:DWORD src1_sel:WORD_1
	v_fma_f16 v16, v29, v106, -v16
	v_lshrrev_b32_e32 v18, 16, v28
	v_sub_f16_e32 v16, v28, v16
	v_sub_f16_e32 v17, v18, v17
	v_fma_f16 v24, v28, 2.0, -v16
	v_fma_f16 v18, v18, 2.0, -v17
	v_pack_b32_f16 v16, v16, v17
	v_and_or_b32 v17, v19, s0, v39
	v_pack_b32_f16 v18, v24, v18
	v_lshl_add_u32 v114, v17, 2, v69
	ds_write2_b32 v114, v18, v16 offset1:16
	v_lshrrev_b32_e32 v16, 16, v30
	v_mul_f16_sdwa v17, v16, v106 dst_sel:DWORD dst_unused:UNUSED_PAD src0_sel:DWORD src1_sel:WORD_1
	v_mul_f16_sdwa v18, v30, v106 dst_sel:DWORD dst_unused:UNUSED_PAD src0_sel:DWORD src1_sel:WORD_1
	v_fma_f16 v17, v30, v106, -v17
	v_fma_f16 v16, v16, v106, v18
	v_lshrrev_b32_e32 v18, 16, v31
	v_sub_f16_e32 v17, v31, v17
	v_sub_f16_e32 v16, v18, v16
	s_movk_i32 s0, 0x7e0
	v_fma_f16 v18, v18, 2.0, -v16
	v_fma_f16 v19, v31, 2.0, -v17
	v_pack_b32_f16 v16, v17, v16
	v_and_or_b32 v17, v20, s0, v39
	v_pack_b32_f16 v18, v19, v18
	v_lshl_add_u32 v115, v17, 2, v69
	ds_write2_b32 v115, v18, v16 offset1:16
	v_lshrrev_b32_e32 v16, 16, v33
	v_mul_f16_sdwa v17, v33, v106 dst_sel:DWORD dst_unused:UNUSED_PAD src0_sel:DWORD src1_sel:WORD_1
	v_fma_f16 v17, v16, v106, v17
	v_mul_f16_sdwa v16, v16, v106 dst_sel:DWORD dst_unused:UNUSED_PAD src0_sel:DWORD src1_sel:WORD_1
	v_fma_f16 v16, v33, v106, -v16
	v_lshrrev_b32_e32 v18, 16, v32
	v_sub_f16_e32 v16, v32, v16
	v_sub_f16_e32 v17, v18, v17
	v_fma_f16 v19, v32, 2.0, -v16
	v_fma_f16 v18, v18, 2.0, -v17
	v_pack_b32_f16 v16, v16, v17
	v_and_or_b32 v17, v21, s1, v39
	v_pack_b32_f16 v18, v19, v18
	v_lshl_add_u32 v116, v17, 2, v69
	ds_write2_b32 v116, v18, v16 offset1:16
	v_lshrrev_b32_e32 v16, 16, v34
	v_mul_f16_sdwa v17, v16, v106 dst_sel:DWORD dst_unused:UNUSED_PAD src0_sel:DWORD src1_sel:WORD_1
	v_mul_f16_sdwa v18, v34, v106 dst_sel:DWORD dst_unused:UNUSED_PAD src0_sel:DWORD src1_sel:WORD_1
	v_fma_f16 v17, v34, v106, -v17
	v_fma_f16 v16, v16, v106, v18
	v_lshrrev_b32_e32 v18, 16, v35
	v_sub_f16_e32 v17, v35, v17
	v_sub_f16_e32 v16, v18, v16
	v_fma_f16 v18, v18, 2.0, -v16
	v_fma_f16 v19, v35, 2.0, -v17
	v_and_or_b32 v14, v14, s0, v39
	v_pack_b32_f16 v18, v19, v18
	v_pack_b32_f16 v16, v17, v16
	v_lshl_add_u32 v117, v14, 2, v69
	ds_write2_b32 v117, v18, v16 offset1:16
	v_lshrrev_b32_e32 v14, 16, v37
	v_mul_f16_sdwa v16, v37, v106 dst_sel:DWORD dst_unused:UNUSED_PAD src0_sel:DWORD src1_sel:WORD_1
	v_fma_f16 v16, v14, v106, v16
	v_mul_f16_sdwa v14, v14, v106 dst_sel:DWORD dst_unused:UNUSED_PAD src0_sel:DWORD src1_sel:WORD_1
	v_fma_f16 v14, v37, v106, -v14
	v_lshrrev_b32_e32 v17, 16, v36
	v_sub_f16_e32 v14, v36, v14
	v_sub_f16_e32 v16, v17, v16
	v_fma_f16 v18, v36, 2.0, -v14
	v_fma_f16 v17, v17, 2.0, -v16
	v_and_or_b32 v13, v13, s0, v39
	v_pack_b32_f16 v17, v18, v17
	v_pack_b32_f16 v14, v14, v16
	v_lshl_add_u32 v118, v13, 2, v69
	v_lshrrev_b32_e32 v13, 16, v38
	ds_write2_b32 v118, v17, v14 offset1:16
	v_mul_f16_sdwa v14, v13, v106 dst_sel:DWORD dst_unused:UNUSED_PAD src0_sel:DWORD src1_sel:WORD_1
	v_mul_f16_sdwa v16, v38, v106 dst_sel:DWORD dst_unused:UNUSED_PAD src0_sel:DWORD src1_sel:WORD_1
	v_fma_f16 v14, v38, v106, -v14
	v_fma_f16 v13, v13, v106, v16
	v_lshrrev_b32_e32 v16, 16, v23
	v_sub_f16_e32 v14, v23, v14
	v_sub_f16_e32 v13, v16, v13
	v_fma_f16 v17, v23, 2.0, -v14
	v_and_or_b32 v18, v22, s0, v39
	v_fma_f16 v16, v16, 2.0, -v13
	v_pack_b32_f16 v16, v17, v16
	v_pack_b32_f16 v13, v14, v13
	v_lshl_add_u32 v119, v18, 2, v69
	v_and_b32_e32 v34, 31, v67
	ds_write2_b32 v119, v16, v13 offset1:16
	v_lshlrev_b32_e32 v13, 3, v34
	s_waitcnt lgkmcnt(0)
	s_barrier
	global_load_dwordx2 v[13:14], v13, s[14:15] offset:120
	v_and_b32_e32 v36, 31, v15
	v_and_b32_e32 v35, 31, v3
	v_lshlrev_b32_e32 v17, 3, v36
	v_and_b32_e32 v37, 31, v10
	v_lshlrev_b32_e32 v16, 3, v35
	v_lshlrev_b32_e32 v22, 3, v37
	global_load_dword v122, v17, s[14:15] offset:122
	global_load_dword v120, v17, s[14:15] offset:124
	global_load_ushort v121, v17, s[14:15] offset:126
	global_load_ushort v126, v22, s[14:15] offset:120
	global_load_dword v125, v17, s[14:15] offset:120
	global_load_ushort v129, v16, s[14:15] offset:120
	global_load_ushort v128, v22, s[14:15] offset:122
	ds_read2_b32 v[16:17], v9 offset0:32 offset1:144
	ds_read2_b32 v[18:19], v7 offset0:64 offset1:176
	ds_read2_b32 v[20:21], v48 offset1:112
	global_load_ushort v131, v22, s[14:15] offset:124
	global_load_ushort v132, v22, s[14:15] offset:126
	v_lshrrev_b32_e32 v41, 5, v67
	s_waitcnt lgkmcnt(2)
	v_lshrrev_b32_e32 v23, 16, v16
	s_waitcnt lgkmcnt(1)
	v_lshrrev_b32_e32 v25, 16, v18
	s_waitcnt lgkmcnt(0)
	v_lshrrev_b32_e32 v27, 16, v20
	s_movk_i32 s0, 0x3aee
	s_mov_b32 s1, 0xbaee
	v_mul_u32_u24_e32 v41, 0x60, v41
	v_or_b32_e32 v41, v41, v34
	v_lshl_add_u32 v123, v41, 2, v69
	s_waitcnt vmcnt(9)
	v_mul_f16_sdwa v24, v16, v13 dst_sel:DWORD dst_unused:UNUSED_PAD src0_sel:DWORD src1_sel:WORD_1
	v_fma_f16 v24, v23, v13, v24
	v_mul_f16_sdwa v26, v18, v14 dst_sel:DWORD dst_unused:UNUSED_PAD src0_sel:DWORD src1_sel:WORD_1
	v_mul_f16_sdwa v23, v23, v13 dst_sel:DWORD dst_unused:UNUSED_PAD src0_sel:DWORD src1_sel:WORD_1
	v_fma_f16 v26, v25, v14, v26
	v_fma_f16 v16, v16, v13, -v23
	v_mul_f16_sdwa v23, v25, v14 dst_sel:DWORD dst_unused:UNUSED_PAD src0_sel:DWORD src1_sel:WORD_1
	v_add_f16_e32 v28, v27, v24
	v_sub_f16_e32 v38, v24, v26
	v_add_f16_e32 v24, v24, v26
	v_fma_f16 v18, v18, v14, -v23
	v_fma_f16 v39, v24, -0.5, v27
	v_add_f16_e32 v23, v20, v16
	v_add_f16_e32 v24, v16, v18
	;; [unrolled: 1-line block ×4, first 2 shown]
	v_sub_f16_e32 v16, v16, v18
	v_fma_f16 v20, v24, -0.5, v20
	v_pack_b32_f16 v18, v23, v28
	v_fma_f16 v23, v38, s0, v20
	v_fma_f16 v24, v16, s1, v39
	v_pack_b32_f16 v40, v23, v24
	ds_read2_b32 v[22:23], v4 offset0:96 offset1:208
	ds_read2_b32 v[24:25], v2 offset0:128 offset1:240
	;; [unrolled: 1-line block ×5, first 2 shown]
	ds_read2_b32 v[32:33], v8 offset1:112
	s_waitcnt vmcnt(0) lgkmcnt(0)
	s_barrier
	ds_write2_b32 v123, v18, v40 offset1:32
	v_lshrrev_b32_e32 v18, 16, v17
	v_mul_f16_sdwa v40, v18, v125 dst_sel:DWORD dst_unused:UNUSED_PAD src0_sel:DWORD src1_sel:WORD_1
	v_fma_f16 v40, v17, v129, -v40
	v_mul_f16_sdwa v17, v17, v125 dst_sel:DWORD dst_unused:UNUSED_PAD src0_sel:DWORD src1_sel:WORD_1
	v_fma_f16 v17, v18, v129, v17
	v_lshrrev_b32_e32 v18, 16, v19
	v_lshrrev_b32_e32 v134, 16, v122
	v_mul_f16_sdwa v41, v18, v120 dst_sel:DWORD dst_unused:UNUSED_PAD src0_sel:DWORD src1_sel:WORD_1
	v_fma_f16 v41, v19, v134, -v41
	v_mul_f16_sdwa v19, v19, v120 dst_sel:DWORD dst_unused:UNUSED_PAD src0_sel:DWORD src1_sel:WORD_1
	v_fma_f16 v18, v18, v134, v19
	v_fma_f16 v19, v38, s1, v20
	;; [unrolled: 1-line block ×3, first 2 shown]
	v_add_f16_e32 v20, v40, v41
	v_lshrrev_b32_e32 v38, 16, v21
	v_pack_b32_f16 v16, v19, v16
	v_fma_f16 v20, v20, -0.5, v21
	v_add_f16_e32 v21, v21, v40
	v_add_f16_e32 v39, v38, v17
	v_sub_f16_e32 v42, v17, v18
	v_add_f16_e32 v17, v17, v18
	ds_write_b32 v123, v16 offset:256
	v_lshrrev_b32_e32 v16, 5, v3
	v_add_f16_e32 v39, v39, v18
	v_fma_f16 v17, v17, -0.5, v38
	v_add_f16_e32 v18, v21, v41
	v_sub_f16_e32 v21, v40, v41
	v_mul_u32_u24_e32 v16, 0x60, v16
	v_or_b32_e32 v16, v16, v35
	v_fma_f16 v19, v42, s0, v20
	v_fma_f16 v35, v21, s1, v17
	v_pack_b32_f16 v18, v18, v39
	v_pack_b32_f16 v19, v19, v35
	v_lshl_add_u32 v124, v16, 2, v69
	ds_write2_b32 v124, v18, v19 offset1:32
	v_fma_f16 v16, v42, s1, v20
	v_fma_f16 v17, v21, s0, v17
	v_lshrrev_b32_e32 v18, 16, v24
	v_mul_f16_sdwa v19, v24, v13 dst_sel:DWORD dst_unused:UNUSED_PAD src0_sel:DWORD src1_sel:WORD_1
	v_lshrrev_b32_e32 v20, 16, v26
	v_mul_f16_sdwa v21, v26, v14 dst_sel:DWORD dst_unused:UNUSED_PAD src0_sel:DWORD src1_sel:WORD_1
	v_fma_f16 v19, v18, v13, v19
	v_fma_f16 v21, v20, v14, v21
	v_lshrrev_b32_e32 v35, 16, v22
	v_mul_f16_sdwa v18, v18, v13 dst_sel:DWORD dst_unused:UNUSED_PAD src0_sel:DWORD src1_sel:WORD_1
	v_mul_f16_sdwa v20, v20, v14 dst_sel:DWORD dst_unused:UNUSED_PAD src0_sel:DWORD src1_sel:WORD_1
	v_add_f16_e32 v38, v35, v19
	v_fma_f16 v18, v24, v13, -v18
	v_fma_f16 v20, v26, v14, -v20
	v_add_f16_e32 v38, v38, v21
	v_sub_f16_e32 v39, v19, v21
	v_add_f16_e32 v19, v19, v21
	v_add_f16_e32 v21, v22, v18
	;; [unrolled: 1-line block ×3, first 2 shown]
	v_fma_f16 v19, v19, -0.5, v35
	v_add_f16_e32 v21, v21, v20
	v_sub_f16_e32 v18, v18, v20
	v_pack_b32_f16 v16, v16, v17
	v_fma_f16 v17, v24, -0.5, v22
	ds_write_b32 v124, v16 offset:256
	v_pack_b32_f16 v16, v21, v38
	v_fma_f16 v20, v39, s0, v17
	v_fma_f16 v21, v18, s1, v19
	v_pack_b32_f16 v20, v20, v21
	v_lshrrev_b32_e32 v21, 5, v0
	v_mul_u32_u24_e32 v21, 0x60, v21
	v_or_b32_e32 v21, v21, v34
	v_lshl_add_u32 v127, v21, 2, v69
	ds_write2_b32 v127, v16, v20 offset1:32
	v_lshrrev_b32_e32 v16, 16, v25
	v_mul_f16_e32 v21, v25, v128
	v_mul_f16_e32 v20, v16, v128
	v_fma_f16 v16, v16, v126, v21
	v_lshrrev_b32_e32 v21, 16, v27
	v_mul_f16_e32 v22, v21, v132
	v_fma_f16 v20, v25, v126, -v20
	v_fma_f16 v22, v27, v131, -v22
	v_mul_f16_e32 v24, v27, v132
	v_fma_f16 v17, v39, s1, v17
	v_fma_f16 v18, v18, s0, v19
	;; [unrolled: 1-line block ×3, first 2 shown]
	v_add_f16_e32 v19, v20, v22
	v_lshrrev_b32_e32 v24, 16, v23
	v_pack_b32_f16 v17, v17, v18
	v_fma_f16 v19, v19, -0.5, v23
	v_add_f16_e32 v23, v23, v20
	v_add_f16_e32 v25, v24, v16
	v_sub_f16_e32 v26, v16, v21
	v_add_f16_e32 v16, v16, v21
	ds_write_b32 v127, v17 offset:256
	v_lshrrev_b32_e32 v17, 5, v10
	v_add_f16_e32 v25, v25, v21
	v_fma_f16 v16, v16, -0.5, v24
	v_add_f16_e32 v21, v23, v22
	v_sub_f16_e32 v20, v20, v22
	v_mul_u32_u24_e32 v17, 0x60, v17
	v_or_b32_e32 v17, v17, v37
	v_pack_b32_f16 v18, v21, v25
	v_fma_f16 v21, v26, s0, v19
	v_fma_f16 v22, v20, s1, v16
	v_pack_b32_f16 v21, v21, v22
	v_lshl_add_u32 v130, v17, 2, v69
	ds_write2_b32 v130, v18, v21 offset1:32
	v_fma_f16 v17, v26, s1, v19
	v_fma_f16 v16, v20, s0, v16
	v_lshrrev_b32_e32 v18, 16, v30
	v_mul_f16_sdwa v19, v30, v13 dst_sel:DWORD dst_unused:UNUSED_PAD src0_sel:DWORD src1_sel:WORD_1
	v_lshrrev_b32_e32 v20, 16, v32
	v_mul_f16_sdwa v21, v32, v14 dst_sel:DWORD dst_unused:UNUSED_PAD src0_sel:DWORD src1_sel:WORD_1
	v_fma_f16 v19, v18, v13, v19
	v_fma_f16 v21, v20, v14, v21
	v_lshrrev_b32_e32 v22, 16, v28
	v_mul_f16_sdwa v18, v18, v13 dst_sel:DWORD dst_unused:UNUSED_PAD src0_sel:DWORD src1_sel:WORD_1
	v_mul_f16_sdwa v20, v20, v14 dst_sel:DWORD dst_unused:UNUSED_PAD src0_sel:DWORD src1_sel:WORD_1
	v_add_f16_e32 v23, v22, v19
	v_sub_f16_e32 v24, v19, v21
	v_add_f16_e32 v19, v19, v21
	v_fma_f16 v18, v30, v13, -v18
	v_fma_f16 v20, v32, v14, -v20
	v_pack_b32_f16 v16, v17, v16
	v_add_f16_e32 v23, v23, v21
	v_fma_f16 v19, v19, -0.5, v22
	v_add_f16_e32 v21, v28, v18
	v_add_f16_e32 v22, v18, v20
	ds_write_b32 v130, v16 offset:256
	v_lshrrev_b32_e32 v16, 5, v11
	v_add_f16_e32 v21, v21, v20
	v_sub_f16_e32 v18, v18, v20
	v_mul_u32_u24_e32 v16, 0x60, v16
	v_fma_f16 v20, v22, -0.5, v28
	v_or_b32_e32 v16, v16, v34
	v_pack_b32_f16 v17, v21, v23
	v_fma_f16 v21, v24, s0, v20
	v_fma_f16 v22, v18, s1, v19
	v_pack_b32_f16 v21, v21, v22
	v_lshl_add_u32 v133, v16, 2, v69
	ds_write2_b32 v133, v17, v21 offset1:32
	v_lshrrev_b32_e32 v16, 16, v31
	v_mul_f16_e32 v21, v31, v122
	v_mul_f16_e32 v17, v16, v122
	v_fma_f16 v16, v16, v125, v21
	v_lshrrev_b32_e32 v21, 16, v33
	v_mul_f16_e32 v23, v33, v121
	v_fma_f16 v17, v31, v125, -v17
	v_mul_f16_e32 v22, v21, v121
	v_fma_f16 v21, v21, v120, v23
	v_lshrrev_b32_e32 v23, 16, v29
	v_fma_f16 v22, v33, v120, -v22
	v_fma_f16 v20, v24, s1, v20
	v_fma_f16 v18, v18, s0, v19
	v_add_f16_e32 v24, v29, v17
	v_add_f16_e32 v25, v23, v16
	v_sub_f16_e32 v26, v16, v21
	v_add_f16_e32 v16, v16, v21
	v_add_f16_e32 v19, v17, v22
	;; [unrolled: 1-line block ×3, first 2 shown]
	v_fma_f16 v21, v16, -0.5, v23
	v_add_f16_e32 v16, v24, v22
	v_sub_f16_e32 v22, v17, v22
	v_pack_b32_f16 v17, v20, v18
	ds_write_b32 v133, v17 offset:256
	v_lshrrev_b32_e32 v17, 5, v15
	v_fma_f16 v19, v19, -0.5, v29
	v_mul_u32_u24_e32 v17, 0x60, v17
	v_or_b32_e32 v17, v17, v36
	v_fma_f16 v18, v26, s0, v19
	v_fma_f16 v20, v22, s1, v21
	v_pack_b32_f16 v16, v16, v25
	v_pack_b32_f16 v18, v18, v20
	v_lshl_add_u32 v135, v17, 2, v69
	ds_write2_b32 v135, v16, v18 offset1:32
	v_add_co_u32_e32 v16, vcc, s2, v67
	v_addc_co_u32_e64 v17, s[2:3], 0, -1, vcc
	v_cmp_gt_u16_e32 vcc, s6, v67
	v_cndmask_b32_e64 v17, v17, 0, vcc
	v_cndmask_b32_e32 v16, v16, v67, vcc
	v_lshlrev_b64 v[17:18], 3, v[16:17]
	v_mov_b32_e32 v27, s15
	v_add_co_u32_e32 v17, vcc, s14, v17
	v_fma_f16 v19, v26, s1, v19
	v_fma_f16 v20, v22, s0, v21
	v_addc_co_u32_e32 v18, vcc, v27, v18, vcc
	v_pack_b32_f16 v19, v19, v20
	ds_write_b32 v135, v19 offset:256
	s_waitcnt lgkmcnt(0)
	s_barrier
	global_load_dwordx2 v[17:18], v[17:18], off offset:376
	s_movk_i32 s2, 0xab
	v_mul_lo_u16_sdwa v19, v3, s2 dst_sel:DWORD dst_unused:UNUSED_PAD src0_sel:BYTE_0 src1_sel:DWORD
	v_lshrrev_b16_e32 v38, 14, v19
	v_mul_lo_u16_e32 v19, 0x60, v38
	s_mov_b32 s2, 0xaaab
	v_sub_u16_e32 v39, v3, v19
	v_mul_u32_u24_sdwa v3, v10, s2 dst_sel:DWORD dst_unused:UNUSED_PAD src0_sel:WORD_0 src1_sel:DWORD
	v_lshrrev_b32_e32 v40, 22, v3
	v_mul_lo_u16_e32 v3, 0x60, v40
	v_sub_u16_e32 v41, v10, v3
	v_lshlrev_b16_e32 v3, 3, v41
	v_add_co_u32_e32 v23, vcc, s14, v3
	v_addc_co_u32_e32 v24, vcc, 0, v27, vcc
	v_mov_b32_e32 v3, 3
	v_lshlrev_b32_sdwa v3, v3, v39 dst_sel:DWORD dst_unused:UNUSED_PAD src0_sel:DWORD src1_sel:BYTE_0
	global_load_dwordx2 v[19:20], v[23:24], off offset:376
	global_load_dwordx2 v[21:22], v3, s[14:15] offset:376
	v_mul_u32_u24_sdwa v3, v0, s2 dst_sel:DWORD dst_unused:UNUSED_PAD src0_sel:WORD_0 src1_sel:DWORD
	v_lshrrev_b32_e32 v42, 22, v3
	v_mul_lo_u16_e32 v3, 0x60, v42
	v_sub_u16_e32 v43, v0, v3
	v_lshlrev_b16_e32 v3, 3, v43
	v_add_co_u32_e32 v23, vcc, s14, v3
	v_addc_co_u32_e32 v24, vcc, 0, v27, vcc
	s_movk_i32 s3, 0x5f
	global_load_dwordx2 v[23:24], v[23:24], off offset:376
	v_mov_b32_e32 v3, 0x120
	v_cmp_lt_u16_e32 vcc, s3, v67
	v_cndmask_b32_e32 v3, 0, v3, vcc
	v_add_u32_e32 v44, v16, v3
	v_mul_u32_u24_sdwa v3, v11, s2 dst_sel:DWORD dst_unused:UNUSED_PAD src0_sel:WORD_0 src1_sel:DWORD
	v_lshrrev_b32_e32 v45, 22, v3
	v_mul_lo_u16_e32 v3, 0x60, v45
	v_sub_u16_e32 v46, v11, v3
	v_mul_u32_u24_sdwa v3, v15, s2 dst_sel:DWORD dst_unused:UNUSED_PAD src0_sel:WORD_0 src1_sel:DWORD
	v_lshrrev_b32_e32 v141, 22, v3
	v_mul_lo_u16_e32 v3, 0x60, v141
	v_sub_u16_e32 v145, v15, v3
	ds_read2_b32 v[15:16], v9 offset0:32 offset1:144
	ds_read2_b32 v[28:29], v7 offset0:64 offset1:176
	v_lshlrev_b16_e32 v3, 3, v46
	ds_read2_b32 v[30:31], v48 offset1:112
	v_add_co_u32_e32 v10, vcc, s14, v3
	v_addc_co_u32_e32 v11, vcc, 0, v27, vcc
	v_lshlrev_b16_e32 v3, 3, v145
	v_add_co_u32_e32 v25, vcc, s14, v3
	v_addc_co_u32_e32 v26, vcc, 0, v27, vcc
	s_waitcnt lgkmcnt(2)
	v_lshrrev_b32_e32 v3, 16, v15
	s_waitcnt lgkmcnt(1)
	v_lshrrev_b32_e32 v9, 16, v28
	;; [unrolled: 2-line block ×3, first 2 shown]
	v_lshl_add_u32 v136, v44, 2, v69
	v_lshrrev_b32_e32 v44, 16, v31
	s_movk_i32 s2, 0x120
	v_cmp_gt_u16_e32 vcc, 64, v67
	s_waitcnt vmcnt(3)
	v_mul_f16_sdwa v7, v15, v17 dst_sel:DWORD dst_unused:UNUSED_PAD src0_sel:DWORD src1_sel:WORD_1
	v_mul_f16_sdwa v27, v28, v18 dst_sel:DWORD dst_unused:UNUSED_PAD src0_sel:DWORD src1_sel:WORD_1
	v_fma_f16 v7, v3, v17, v7
	v_fma_f16 v27, v9, v18, v27
	v_add_f16_e32 v33, v32, v7
	v_sub_f16_e32 v137, v7, v27
	v_add_f16_e32 v7, v7, v27
	v_fma_f16 v138, v7, -0.5, v32
	v_mul_f16_sdwa v7, v9, v18 dst_sel:DWORD dst_unused:UNUSED_PAD src0_sel:DWORD src1_sel:WORD_1
	v_add_f16_e32 v33, v33, v27
	v_fma_f16 v7, v28, v18, -v7
	global_load_dwordx2 v[27:28], v[10:11], off offset:376
	s_nop 0
	global_load_dwordx2 v[25:26], v[25:26], off offset:376
	v_mul_f16_sdwa v3, v3, v17 dst_sel:DWORD dst_unused:UNUSED_PAD src0_sel:DWORD src1_sel:WORD_1
	v_fma_f16 v3, v15, v17, -v3
	v_add_f16_e32 v15, v3, v7
	v_add_f16_e32 v9, v30, v3
	v_sub_f16_e32 v139, v3, v7
	v_fma_f16 v15, v15, -0.5, v30
	v_add_f16_e32 v9, v9, v7
	v_fma_f16 v3, v137, s0, v15
	v_fma_f16 v7, v139, s1, v138
	v_pack_b32_f16 v140, v9, v33
	v_pack_b32_f16 v30, v3, v7
	ds_read2_b32 v[3:4], v4 offset0:96 offset1:208
	ds_read2_b32 v[6:7], v6 offset0:32 offset1:144
	;; [unrolled: 1-line block ×3, first 2 shown]
	ds_read2_b32 v[32:33], v8 offset1:112
	ds_read2_b32 v[34:35], v2 offset0:128 offset1:240
	ds_read2_b32 v[36:37], v1 offset0:96 offset1:208
	v_lshrrev_b32_e32 v5, 16, v16
	s_waitcnt vmcnt(3)
	v_mul_f16_sdwa v11, v16, v21 dst_sel:DWORD dst_unused:UNUSED_PAD src0_sel:DWORD src1_sel:WORD_1
	v_mul_f16_sdwa v8, v5, v21 dst_sel:DWORD dst_unused:UNUSED_PAD src0_sel:DWORD src1_sel:WORD_1
	v_fma_f16 v5, v5, v21, v11
	v_lshrrev_b32_e32 v11, 16, v29
	v_fma_f16 v8, v16, v21, -v8
	v_mul_f16_sdwa v16, v11, v22 dst_sel:DWORD dst_unused:UNUSED_PAD src0_sel:DWORD src1_sel:WORD_1
	v_fma_f16 v16, v29, v22, -v16
	v_mul_f16_sdwa v29, v29, v22 dst_sel:DWORD dst_unused:UNUSED_PAD src0_sel:DWORD src1_sel:WORD_1
	v_fma_f16 v11, v11, v22, v29
	v_fma_f16 v15, v137, s1, v15
	;; [unrolled: 1-line block ×3, first 2 shown]
	s_waitcnt vmcnt(0) lgkmcnt(0)
	s_barrier
	ds_write2_b32 v136, v140, v30 offset1:96
	v_add_f16_e32 v30, v8, v16
	v_add_f16_e32 v137, v44, v5
	v_sub_f16_e32 v138, v5, v11
	v_add_f16_e32 v5, v5, v11
	v_pack_b32_f16 v15, v15, v29
	v_fma_f16 v30, v30, -0.5, v31
	v_add_f16_e32 v31, v31, v8
	v_fma_f16 v5, v5, -0.5, v44
	v_sub_f16_e32 v8, v8, v16
	ds_write_b32 v136, v15 offset:768
	v_mul_u32_u24_e32 v15, 0x120, v38
	v_add_f16_e32 v137, v137, v11
	v_add_f16_e32 v11, v31, v16
	v_add_u32_sdwa v15, v15, v39 dst_sel:DWORD dst_unused:UNUSED_PAD src0_sel:DWORD src1_sel:BYTE_0
	v_fma_f16 v16, v138, s0, v30
	v_fma_f16 v29, v8, s1, v5
	v_pack_b32_f16 v11, v11, v137
	v_pack_b32_f16 v16, v16, v29
	v_lshl_add_u32 v137, v15, 2, v69
	ds_write2_b32 v137, v11, v16 offset1:96
	v_fma_f16 v5, v8, s0, v5
	v_lshrrev_b32_e32 v8, 16, v34
	v_mul_f16_sdwa v15, v34, v23 dst_sel:DWORD dst_unused:UNUSED_PAD src0_sel:DWORD src1_sel:WORD_1
	v_lshrrev_b32_e32 v16, 16, v6
	v_mul_f16_sdwa v29, v6, v24 dst_sel:DWORD dst_unused:UNUSED_PAD src0_sel:DWORD src1_sel:WORD_1
	v_fma_f16 v11, v138, s1, v30
	v_fma_f16 v15, v8, v23, v15
	;; [unrolled: 1-line block ×3, first 2 shown]
	v_lshrrev_b32_e32 v30, 16, v3
	v_mul_f16_sdwa v8, v8, v23 dst_sel:DWORD dst_unused:UNUSED_PAD src0_sel:DWORD src1_sel:WORD_1
	v_mul_f16_sdwa v16, v16, v24 dst_sel:DWORD dst_unused:UNUSED_PAD src0_sel:DWORD src1_sel:WORD_1
	v_add_f16_e32 v31, v30, v15
	v_fma_f16 v8, v34, v23, -v8
	v_fma_f16 v6, v6, v24, -v16
	v_add_f16_e32 v31, v31, v29
	v_sub_f16_e32 v38, v15, v29
	v_add_f16_e32 v15, v15, v29
	v_add_f16_e32 v16, v3, v8
	;; [unrolled: 1-line block ×3, first 2 shown]
	v_fma_f16 v15, v15, -0.5, v30
	v_add_f16_e32 v16, v16, v6
	v_sub_f16_e32 v6, v8, v6
	v_pack_b32_f16 v5, v11, v5
	v_fma_f16 v3, v29, -0.5, v3
	ds_write_b32 v137, v5 offset:768
	v_mad_legacy_u16 v5, v42, s2, v43
	v_pack_b32_f16 v8, v16, v31
	v_fma_f16 v11, v38, s0, v3
	v_fma_f16 v16, v6, s1, v15
	v_pack_b32_f16 v11, v11, v16
	v_lshl_add_u32 v138, v5, 2, v69
	ds_write2_b32 v138, v8, v11 offset1:96
	v_lshrrev_b32_e32 v5, 16, v35
	v_mul_f16_sdwa v11, v35, v19 dst_sel:DWORD dst_unused:UNUSED_PAD src0_sel:DWORD src1_sel:WORD_1
	v_mul_f16_sdwa v8, v5, v19 dst_sel:DWORD dst_unused:UNUSED_PAD src0_sel:DWORD src1_sel:WORD_1
	v_fma_f16 v5, v5, v19, v11
	v_lshrrev_b32_e32 v11, 16, v7
	v_mul_f16_sdwa v16, v11, v20 dst_sel:DWORD dst_unused:UNUSED_PAD src0_sel:DWORD src1_sel:WORD_1
	v_fma_f16 v16, v7, v20, -v16
	v_mul_f16_sdwa v7, v7, v20 dst_sel:DWORD dst_unused:UNUSED_PAD src0_sel:DWORD src1_sel:WORD_1
	v_fma_f16 v8, v35, v19, -v8
	v_fma_f16 v7, v11, v20, v7
	v_fma_f16 v6, v6, s0, v15
	v_lshrrev_b32_e32 v15, 16, v4
	v_fma_f16 v3, v38, s1, v3
	v_add_f16_e32 v11, v8, v16
	v_add_f16_e32 v29, v15, v5
	v_sub_f16_e32 v30, v5, v7
	v_add_f16_e32 v5, v5, v7
	v_fma_f16 v11, v11, -0.5, v4
	v_add_f16_e32 v4, v4, v8
	v_add_f16_e32 v29, v29, v7
	v_fma_f16 v5, v5, -0.5, v15
	v_sub_f16_e32 v7, v8, v16
	v_pack_b32_f16 v3, v3, v6
	v_add_f16_e32 v4, v4, v16
	ds_write_b32 v138, v3 offset:768
	v_mad_legacy_u16 v3, v40, s2, v41
	v_fma_f16 v6, v30, s0, v11
	v_fma_f16 v8, v7, s1, v5
	v_pack_b32_f16 v4, v4, v29
	v_pack_b32_f16 v6, v6, v8
	v_lshl_add_u32 v139, v3, 2, v69
	ds_write2_b32 v139, v4, v6 offset1:96
	v_fma_f16 v4, v7, s0, v5
	v_lshrrev_b32_e32 v5, 16, v36
	v_mul_f16_sdwa v6, v36, v27 dst_sel:DWORD dst_unused:UNUSED_PAD src0_sel:DWORD src1_sel:WORD_1
	v_lshrrev_b32_e32 v7, 16, v32
	v_mul_f16_sdwa v8, v32, v28 dst_sel:DWORD dst_unused:UNUSED_PAD src0_sel:DWORD src1_sel:WORD_1
	v_fma_f16 v3, v30, s1, v11
	v_fma_f16 v6, v5, v27, v6
	;; [unrolled: 1-line block ×3, first 2 shown]
	v_lshrrev_b32_e32 v11, 16, v9
	v_mul_f16_sdwa v5, v5, v27 dst_sel:DWORD dst_unused:UNUSED_PAD src0_sel:DWORD src1_sel:WORD_1
	v_mul_f16_sdwa v7, v7, v28 dst_sel:DWORD dst_unused:UNUSED_PAD src0_sel:DWORD src1_sel:WORD_1
	v_add_f16_e32 v15, v11, v6
	v_sub_f16_e32 v16, v6, v8
	v_add_f16_e32 v6, v6, v8
	v_fma_f16 v5, v36, v27, -v5
	v_fma_f16 v7, v32, v28, -v7
	v_add_f16_e32 v15, v15, v8
	v_fma_f16 v6, v6, -0.5, v11
	v_add_f16_e32 v8, v9, v5
	v_add_f16_e32 v11, v5, v7
	;; [unrolled: 1-line block ×3, first 2 shown]
	v_sub_f16_e32 v5, v5, v7
	v_pack_b32_f16 v3, v3, v4
	v_fma_f16 v7, v11, -0.5, v9
	ds_write_b32 v139, v3 offset:768
	v_mad_legacy_u16 v3, v45, s2, v46
	v_pack_b32_f16 v4, v8, v15
	v_fma_f16 v8, v16, s0, v7
	v_fma_f16 v9, v5, s1, v6
	v_pack_b32_f16 v8, v8, v9
	v_lshl_add_u32 v140, v3, 2, v69
	ds_write2_b32 v140, v4, v8 offset1:96
	v_lshrrev_b32_e32 v3, 16, v37
	v_mul_f16_sdwa v8, v37, v25 dst_sel:DWORD dst_unused:UNUSED_PAD src0_sel:DWORD src1_sel:WORD_1
	v_mul_f16_sdwa v4, v3, v25 dst_sel:DWORD dst_unused:UNUSED_PAD src0_sel:DWORD src1_sel:WORD_1
	v_fma_f16 v3, v3, v25, v8
	v_lshrrev_b32_e32 v8, 16, v33
	v_mul_f16_sdwa v9, v8, v26 dst_sel:DWORD dst_unused:UNUSED_PAD src0_sel:DWORD src1_sel:WORD_1
	v_fma_f16 v4, v37, v25, -v4
	v_fma_f16 v9, v33, v26, -v9
	v_mul_f16_sdwa v11, v33, v26 dst_sel:DWORD dst_unused:UNUSED_PAD src0_sel:DWORD src1_sel:WORD_1
	v_fma_f16 v143, v5, s0, v6
	v_add_f16_e32 v5, v4, v9
	v_lshrrev_b32_e32 v6, 16, v10
	v_fma_f16 v8, v8, v26, v11
	v_fma_f16 v142, v16, s1, v7
	v_fma_f16 v5, v5, -0.5, v10
	v_add_f16_e32 v7, v10, v4
	v_add_f16_e32 v10, v6, v3
	;; [unrolled: 1-line block ×3, first 2 shown]
	v_sub_f16_e32 v10, v3, v8
	v_add_f16_e32 v3, v3, v8
	v_fma_f16 v3, v3, -0.5, v6
	v_sub_f16_e32 v4, v4, v9
	v_pack_b32_f16 v6, v142, v143
	ds_write_b32 v140, v6 offset:768
	v_mad_legacy_u16 v6, v141, s2, v145
	v_fma_f16 v146, v10, s1, v5
	v_fma_f16 v149, v4, s0, v3
	v_add_f16_e32 v144, v7, v9
	v_lshl_add_u32 v141, v6, 2, v69
	v_fma_f16 v145, v10, s0, v5
	v_fma_f16 v148, v4, s1, v3
	v_pack_b32_f16 v3, v146, v149
	v_pack_b32_f16 v6, v144, v147
	;; [unrolled: 1-line block ×3, first 2 shown]
	ds_write_b32 v141, v3 offset:768
	v_add_u32_e32 v3, 0x400, v48
	ds_write2_b32 v141, v6, v7 offset1:96
	s_waitcnt lgkmcnt(0)
	s_barrier
	ds_read2_b32 v[43:44], v3 offset0:32 offset1:144
	v_add_u32_e32 v3, 0x800, v48
	ds_read2_b32 v[45:46], v3 offset0:64 offset1:176
	ds_read2_b32 v[41:42], v2 offset0:96 offset1:208
	;; [unrolled: 1-line block ×3, first 2 shown]
	v_add_u32_e32 v1, 0x1600, v48
	ds_read2_b32 v[37:38], v1 offset0:32 offset1:144
	v_add_u32_e32 v1, 0x1a00, v48
	s_load_dwordx2 s[2:3], s[4:5], 0x38
	ds_read2_b32 v[39:40], v1 offset0:64 offset1:176
	ds_read2_b32 v[33:34], v48 offset1:112
	s_and_saveexec_b64 s[0:1], vcc
	s_cbranch_execz .LBB0_3
; %bb.2:
	ds_read_b32 v142, v48 offset:896
	ds_read_b32 v144, v48 offset:2048
	ds_read_b32 v145, v48 offset:3200
	ds_read_b32 v146, v48 offset:4352
	ds_read_b32 v152, v48 offset:5504
	ds_read_b32 v150, v48 offset:6656
	ds_read_b32 v151, v48 offset:7808
	s_waitcnt lgkmcnt(0)
	v_lshrrev_b32_e32 v143, 16, v142
	v_lshrrev_b32_e32 v147, 16, v144
	;; [unrolled: 1-line block ×7, first 2 shown]
.LBB0_3:
	s_or_b64 exec, exec, s[0:1]
	v_subrev_u32_e32 v3, 64, v67
	v_mad_u64_u32 v[1:2], s[0:1], v67, 24, s[14:15]
	v_cndmask_b32_e32 v0, v3, v0, vcc
	v_mul_hi_i32_i24_e32 v3, 24, v0
	v_mul_i32_i24_e32 v0, 24, v0
	v_mov_b32_e32 v16, s15
	v_add_co_u32_e64 v15, s[0:1], s14, v0
	v_addc_co_u32_e64 v16, s[0:1], v16, v3, s[0:1]
	global_load_dwordx4 v[4:7], v[1:2], off offset:1144
	global_load_dwordx2 v[29:30], v[1:2], off offset:1160
	global_load_dwordx4 v[8:11], v[1:2], off offset:3832
	global_load_dwordx2 v[31:32], v[1:2], off offset:3848
	s_nop 0
	global_load_dwordx4 v[0:3], v[15:16], off offset:1144
	s_nop 0
	global_load_dwordx2 v[15:16], v[15:16], off offset:1160
	s_waitcnt lgkmcnt(0)
	v_lshrrev_b32_e32 v156, 16, v43
	v_lshrrev_b32_e32 v157, 16, v45
	;; [unrolled: 1-line block ×10, first 2 shown]
	s_movk_i32 s0, 0x2b26
	s_movk_i32 s1, 0x3b00
	s_mov_b32 s4, 0xbcab
	s_movk_i32 s5, 0x39e0
	s_mov_b32 s6, 0xb9e0
	;; [unrolled: 2-line block ×3, first 2 shown]
	v_lshrrev_b32_e32 v164, 16, v42
	v_lshrrev_b32_e32 v165, 16, v36
	s_movk_i32 s15, 0x370e
	s_waitcnt vmcnt(5)
	v_mul_f16_sdwa v168, v156, v4 dst_sel:DWORD dst_unused:UNUSED_PAD src0_sel:DWORD src1_sel:WORD_1
	v_mul_f16_sdwa v169, v43, v4 dst_sel:DWORD dst_unused:UNUSED_PAD src0_sel:DWORD src1_sel:WORD_1
	v_fma_f16 v43, v43, v4, -v168
	s_waitcnt vmcnt(1)
	v_mul_f16_sdwa v196, v149, v2 dst_sel:DWORD dst_unused:UNUSED_PAD src0_sel:DWORD src1_sel:WORD_1
	v_fma_f16 v168, v146, v2, -v196
	v_mul_f16_sdwa v146, v146, v2 dst_sel:DWORD dst_unused:UNUSED_PAD src0_sel:DWORD src1_sel:WORD_1
	v_fma_f16 v146, v149, v2, v146
	v_mul_f16_sdwa v149, v155, v3 dst_sel:DWORD dst_unused:UNUSED_PAD src0_sel:DWORD src1_sel:WORD_1
	v_fma_f16 v149, v152, v3, -v149
	v_mul_f16_sdwa v152, v152, v3 dst_sel:DWORD dst_unused:UNUSED_PAD src0_sel:DWORD src1_sel:WORD_1
	v_fma_f16 v152, v155, v3, v152
	s_waitcnt vmcnt(0)
	v_mul_f16_sdwa v155, v153, v15 dst_sel:DWORD dst_unused:UNUSED_PAD src0_sel:DWORD src1_sel:WORD_1
	v_fma_f16 v155, v150, v15, -v155
	v_mul_f16_sdwa v150, v150, v15 dst_sel:DWORD dst_unused:UNUSED_PAD src0_sel:DWORD src1_sel:WORD_1
	v_mul_f16_sdwa v170, v157, v5 dst_sel:DWORD dst_unused:UNUSED_PAD src0_sel:DWORD src1_sel:WORD_1
	;; [unrolled: 1-line block ×7, first 2 shown]
	v_fma_f16 v150, v153, v15, v150
	v_mul_f16_sdwa v153, v154, v16 dst_sel:DWORD dst_unused:UNUSED_PAD src0_sel:DWORD src1_sel:WORD_1
	v_mul_f16_sdwa v172, v158, v6 dst_sel:DWORD dst_unused:UNUSED_PAD src0_sel:DWORD src1_sel:WORD_1
	;; [unrolled: 1-line block ×5, first 2 shown]
	v_fma_f16 v156, v156, v4, v169
	v_fma_f16 v45, v45, v5, -v170
	v_fma_f16 v157, v157, v5, v171
	v_fma_f16 v37, v37, v29, -v176
	;; [unrolled: 2-line block ×4, first 2 shown]
	v_mul_f16_sdwa v151, v151, v16 dst_sel:DWORD dst_unused:UNUSED_PAD src0_sel:DWORD src1_sel:WORD_1
	v_fma_f16 v41, v41, v6, -v172
	v_fma_f16 v158, v158, v6, v173
	v_fma_f16 v35, v35, v7, -v174
	v_fma_f16 v159, v159, v7, v175
	v_fma_f16 v151, v154, v16, v151
	v_add_f16_e32 v154, v43, v39
	v_add_f16_e32 v169, v156, v161
	v_sub_f16_e32 v39, v43, v39
	v_sub_f16_e32 v43, v156, v161
	v_add_f16_e32 v156, v45, v37
	v_add_f16_e32 v161, v157, v160
	v_sub_f16_e32 v37, v45, v37
	v_sub_f16_e32 v45, v157, v160
	;; [unrolled: 4-line block ×4, first 2 shown]
	v_sub_f16_e32 v154, v154, v157
	v_sub_f16_e32 v169, v169, v160
	;; [unrolled: 1-line block ×4, first 2 shown]
	v_add_f16_e32 v172, v35, v37
	v_add_f16_e32 v173, v41, v45
	v_sub_f16_e32 v174, v35, v37
	v_sub_f16_e32 v175, v41, v45
	;; [unrolled: 1-line block ×3, first 2 shown]
	v_add_f16_e32 v157, v157, v158
	v_add_f16_e32 v158, v160, v159
	v_sub_f16_e32 v35, v39, v35
	v_sub_f16_e32 v41, v43, v41
	;; [unrolled: 1-line block ×3, first 2 shown]
	v_add_f16_e32 v39, v172, v39
	v_add_f16_e32 v43, v173, v43
	;; [unrolled: 1-line block ×3, first 2 shown]
	v_add_f16_sdwa v33, v33, v158 dst_sel:DWORD dst_unused:UNUSED_PAD src0_sel:WORD_1 src1_sel:DWORD
	v_mul_f16_e32 v154, 0x3a52, v154
	v_mul_f16_e32 v160, 0x3a52, v169
	;; [unrolled: 1-line block ×7, first 2 shown]
	v_mul_f16_sdwa v180, v162, v8 dst_sel:DWORD dst_unused:UNUSED_PAD src0_sel:DWORD src1_sel:WORD_1
	v_mul_f16_sdwa v181, v44, v8 dst_sel:DWORD dst_unused:UNUSED_PAD src0_sel:DWORD src1_sel:WORD_1
	v_mul_f16_sdwa v182, v163, v9 dst_sel:DWORD dst_unused:UNUSED_PAD src0_sel:DWORD src1_sel:WORD_1
	v_mul_f16_sdwa v183, v46, v9 dst_sel:DWORD dst_unused:UNUSED_PAD src0_sel:DWORD src1_sel:WORD_1
	v_mul_f16_sdwa v188, v166, v31 dst_sel:DWORD dst_unused:UNUSED_PAD src0_sel:DWORD src1_sel:WORD_1
	v_mul_f16_sdwa v189, v38, v31 dst_sel:DWORD dst_unused:UNUSED_PAD src0_sel:DWORD src1_sel:WORD_1
	v_mul_f16_sdwa v190, v167, v32 dst_sel:DWORD dst_unused:UNUSED_PAD src0_sel:DWORD src1_sel:WORD_1
	v_mul_f16_sdwa v191, v40, v32 dst_sel:DWORD dst_unused:UNUSED_PAD src0_sel:DWORD src1_sel:WORD_1
	v_mul_f16_e32 v176, 0x3b00, v45
	v_fma_f16 v157, v157, s4, v159
	v_fma_f16 v158, v158, s4, v33
	;; [unrolled: 1-line block ×4, first 2 shown]
	v_fma_f16 v169, v170, s5, -v169
	v_fma_f16 v172, v171, s5, -v172
	;; [unrolled: 1-line block ×4, first 2 shown]
	v_fma_f16 v170, v35, s7, v173
	v_fma_f16 v37, v37, s1, -v173
	v_fma_f16 v35, v35, s14, -v175
	v_mul_f16_sdwa v184, v164, v10 dst_sel:DWORD dst_unused:UNUSED_PAD src0_sel:DWORD src1_sel:WORD_1
	v_mul_f16_sdwa v185, v42, v10 dst_sel:DWORD dst_unused:UNUSED_PAD src0_sel:DWORD src1_sel:WORD_1
	;; [unrolled: 1-line block ×4, first 2 shown]
	v_fma_f16 v44, v44, v8, -v180
	v_fma_f16 v162, v162, v8, v181
	v_fma_f16 v46, v46, v9, -v182
	v_fma_f16 v163, v163, v9, v183
	;; [unrolled: 2-line block ×4, first 2 shown]
	v_fma_f16 v171, v41, s7, v174
	v_fma_f16 v45, v45, s1, -v174
	v_fma_f16 v41, v41, s14, -v176
	v_add_f16_e32 v156, v156, v157
	v_add_f16_e32 v169, v169, v157
	;; [unrolled: 1-line block ×5, first 2 shown]
	v_fma_f16 v37, v39, s15, v37
	v_fma_f16 v35, v39, s15, v35
	v_fma_f16 v42, v42, v10, -v184
	v_fma_f16 v164, v164, v10, v185
	v_fma_f16 v36, v36, v11, -v186
	v_fma_f16 v165, v165, v11, v187
	v_add_f16_e32 v161, v161, v158
	v_fma_f16 v158, v39, s15, v170
	v_fma_f16 v160, v43, s15, v171
	;; [unrolled: 1-line block ×4, first 2 shown]
	v_sub_f16_e32 v174, v157, v35
	v_add_f16_e32 v176, v37, v172
	v_sub_f16_e32 v172, v172, v37
	v_add_f16_e32 v157, v35, v157
	v_add_f16_e32 v35, v44, v40
	;; [unrolled: 1-line block ×6, first 2 shown]
	v_sub_f16_e32 v171, v161, v158
	v_add_f16_e32 v173, v39, v154
	v_sub_f16_e32 v175, v169, v45
	v_add_f16_e32 v169, v45, v169
	v_sub_f16_e32 v154, v154, v39
	v_sub_f16_e32 v156, v156, v160
	v_add_f16_e32 v158, v158, v161
	v_sub_f16_e32 v39, v44, v40
	v_sub_f16_e32 v40, v162, v167
	;; [unrolled: 1-line block ×4, first 2 shown]
	v_add_f16_e32 v45, v42, v36
	v_add_f16_e32 v46, v164, v165
	v_sub_f16_e32 v36, v36, v42
	v_sub_f16_e32 v42, v165, v164
	v_add_f16_e32 v160, v41, v35
	v_add_f16_e32 v161, v43, v37
	v_sub_f16_e32 v162, v41, v35
	v_sub_f16_e32 v163, v43, v37
	;; [unrolled: 1-line block ×6, first 2 shown]
	v_add_f16_e32 v164, v36, v38
	v_add_f16_e32 v165, v42, v44
	v_sub_f16_e32 v166, v36, v38
	v_sub_f16_e32 v167, v42, v44
	;; [unrolled: 1-line block ×4, first 2 shown]
	v_add_f16_e32 v45, v45, v160
	v_add_f16_e32 v46, v46, v161
	v_sub_f16_e32 v36, v39, v36
	v_sub_f16_e32 v42, v40, v42
	v_add_f16_e32 v39, v164, v39
	v_add_f16_e32 v40, v165, v40
	;; [unrolled: 1-line block ×3, first 2 shown]
	v_add_f16_sdwa v161, v34, v46 dst_sel:DWORD dst_unused:UNUSED_PAD src0_sel:WORD_1 src1_sel:DWORD
	v_mul_f16_e32 v34, 0x3a52, v35
	v_mul_f16_e32 v35, 0x3a52, v37
	;; [unrolled: 1-line block ×8, first 2 shown]
	v_mul_f16_sdwa v192, v147, v0 dst_sel:DWORD dst_unused:UNUSED_PAD src0_sel:DWORD src1_sel:WORD_1
	v_mul_f16_sdwa v194, v148, v1 dst_sel:DWORD dst_unused:UNUSED_PAD src0_sel:DWORD src1_sel:WORD_1
	v_fma_f16 v45, v45, s4, v160
	v_fma_f16 v46, v46, s4, v161
	v_fma_f16 v41, v41, s0, v34
	v_fma_f16 v43, v43, s0, v35
	v_fma_f16 v37, v162, s5, -v37
	v_fma_f16 v164, v163, s5, -v164
	;; [unrolled: 1-line block ×4, first 2 shown]
	v_fma_f16 v162, v36, s7, v165
	v_fma_f16 v163, v42, s7, v166
	v_fma_f16 v38, v38, s1, -v165
	v_fma_f16 v36, v36, s14, -v167
	;; [unrolled: 1-line block ×3, first 2 shown]
	v_mul_f16_sdwa v193, v144, v0 dst_sel:DWORD dst_unused:UNUSED_PAD src0_sel:DWORD src1_sel:WORD_1
	v_mul_f16_sdwa v195, v145, v1 dst_sel:DWORD dst_unused:UNUSED_PAD src0_sel:DWORD src1_sel:WORD_1
	v_fma_f16 v144, v144, v0, -v192
	v_fma_f16 v145, v145, v1, -v194
	v_add_f16_e32 v41, v41, v45
	v_add_f16_e32 v37, v37, v45
	;; [unrolled: 1-line block ×4, first 2 shown]
	v_fma_f16 v45, v39, s15, v162
	v_fma_f16 v38, v39, s15, v38
	;; [unrolled: 1-line block ×6, first 2 shown]
	v_fma_f16 v44, v44, s1, -v166
	v_add_f16_e32 v43, v43, v46
	v_add_f16_e32 v35, v35, v46
	v_fma_f16 v46, v40, s15, v163
	v_add_f16_e32 v165, v39, v34
	v_add_f16_e32 v177, v38, v164
	v_sub_f16_e32 v164, v164, v38
	v_sub_f16_e32 v179, v34, v39
	v_add_f16_e32 v34, v144, v153
	v_add_f16_e32 v38, v145, v155
	v_fma_f16 v44, v40, s15, v44
	v_add_f16_e32 v162, v46, v41
	v_sub_f16_e32 v166, v35, v36
	v_add_f16_e32 v180, v36, v35
	v_sub_f16_e32 v181, v41, v46
	v_add_f16_e32 v35, v147, v151
	v_add_f16_e32 v39, v148, v150
	;; [unrolled: 1-line block ×4, first 2 shown]
	v_sub_f16_e32 v163, v43, v45
	v_sub_f16_e32 v167, v37, v44
	v_add_f16_e32 v178, v44, v37
	v_add_f16_e32 v182, v45, v43
	v_sub_f16_e32 v36, v144, v153
	v_sub_f16_e32 v37, v147, v151
	;; [unrolled: 1-line block ×4, first 2 shown]
	v_add_f16_e32 v43, v146, v152
	v_sub_f16_e32 v44, v149, v168
	v_sub_f16_e32 v45, v152, v146
	v_add_f16_e32 v144, v39, v35
	v_sub_f16_e32 v145, v38, v34
	v_sub_f16_e32 v34, v34, v42
	;; [unrolled: 1-line block ×3, first 2 shown]
	v_add_f16_e32 v42, v42, v46
	v_sub_f16_e32 v146, v39, v35
	v_sub_f16_e32 v35, v35, v43
	;; [unrolled: 1-line block ×3, first 2 shown]
	v_add_f16_e32 v147, v44, v40
	v_add_f16_e32 v148, v45, v41
	v_sub_f16_e32 v149, v44, v40
	v_sub_f16_e32 v150, v45, v41
	;; [unrolled: 1-line block ×4, first 2 shown]
	v_add_f16_e32 v43, v43, v144
	v_add_f16_e32 v40, v142, v42
	v_mul_f16_e32 v34, 0x3a52, v34
	v_mul_f16_e32 v46, 0x2b26, v38
	v_sub_f16_e32 v44, v36, v44
	v_sub_f16_e32 v45, v37, v45
	v_add_f16_e32 v36, v147, v36
	v_add_f16_e32 v37, v148, v37
	;; [unrolled: 1-line block ×3, first 2 shown]
	v_mul_f16_e32 v35, 0x3a52, v35
	v_mul_f16_e32 v142, 0x2b26, v39
	;; [unrolled: 1-line block ×6, first 2 shown]
	v_fma_f16 v149, v42, s4, v40
	v_fma_f16 v38, v38, s0, v34
	v_fma_f16 v46, v145, s5, -v46
	v_fma_f16 v34, v145, s6, -v34
	v_fma_f16 v39, v39, s0, v35
	v_fma_f16 v142, v146, s5, -v142
	v_fma_f16 v35, v146, s6, -v35
	v_fma_f16 v145, v44, s7, v143
	v_fma_f16 v146, v45, s7, v144
	v_fma_f16 v147, v44, s14, -v147
	v_fma_f16 v148, v45, s14, -v148
	v_add_f16_e32 v42, v38, v149
	v_add_f16_e32 v44, v46, v149
	;; [unrolled: 1-line block ×3, first 2 shown]
	v_pack_b32_f16 v149, v159, v33
	v_lshl_add_u32 v33, v67, 2, v69
	v_pack_b32_f16 v69, v170, v171
	ds_write_b32 v33, v69 offset:1152
	v_pack_b32_f16 v69, v173, v174
	ds_write_b32 v33, v69 offset:2304
	;; [unrolled: 2-line block ×6, first 2 shown]
	v_pack_b32_f16 v69, v160, v161
	ds_write2_b32 v48, v149, v69 offset1:112
	v_pack_b32_f16 v69, v162, v163
	ds_write_b32 v33, v69 offset:1600
	v_pack_b32_f16 v69, v165, v166
	ds_write_b32 v33, v69 offset:2752
	v_pack_b32_f16 v69, v167, v177
	v_fma_f16 v150, v43, s4, v41
	v_fma_f16 v151, v151, s1, -v143
	v_fma_f16 v152, v152, s1, -v144
	ds_write_b32 v33, v69 offset:3904
	v_pack_b32_f16 v69, v178, v164
	v_add_f16_e32 v43, v39, v150
	v_add_f16_e32 v143, v142, v150
	;; [unrolled: 1-line block ×3, first 2 shown]
	v_fma_f16 v46, v36, s15, v145
	v_fma_f16 v142, v37, s15, v146
	;; [unrolled: 1-line block ×6, first 2 shown]
	ds_write_b32 v33, v69 offset:5056
	v_pack_b32_f16 v69, v179, v180
	v_add_f16_e32 v34, v146, v44
	v_sub_f16_e32 v37, v143, v145
	v_sub_f16_e32 v35, v45, v148
	v_add_f16_e32 v36, v147, v144
	v_sub_f16_e32 v38, v42, v142
	v_add_f16_e32 v39, v46, v43
	ds_write_b32 v33, v69 offset:6208
	v_pack_b32_f16 v69, v181, v182
	ds_write_b32 v33, v69 offset:7360
	s_and_saveexec_b64 s[0:1], vcc
	s_cbranch_execz .LBB0_5
; %bb.4:
	s_mov_b32 s4, 0x5040100
	v_sub_f16_e32 v43, v43, v46
	v_add_f16_e32 v42, v142, v42
	v_perm_b32 v40, v41, v40, s4
	v_add_f16_e32 v69, v145, v143
	v_sub_f16_e32 v143, v144, v147
	v_add_f16_e32 v45, v148, v45
	ds_write_b32 v48, v40 offset:896
	v_pack_b32_f16 v40, v42, v43
	v_sub_f16_e32 v44, v44, v146
	ds_write_b32 v33, v40 offset:2048
	v_pack_b32_f16 v40, v45, v143
	ds_write_b32 v33, v40 offset:3200
	v_pack_b32_f16 v40, v44, v69
	ds_write_b32 v33, v40 offset:4352
	v_perm_b32 v40, v37, v34, s4
	ds_write_b32 v33, v40 offset:5504
	v_perm_b32 v40, v36, v35, s4
	;; [unrolled: 2-line block ×3, first 2 shown]
	ds_write_b32 v33, v40 offset:7808
.LBB0_5:
	s_or_b64 exec, exec, s[0:1]
	s_add_u32 s4, s12, 0x1f80
	s_addc_u32 s5, s13, 0
	v_lshlrev_b32_e32 v46, 2, v67
	s_waitcnt lgkmcnt(0)
	s_barrier
	global_load_dword v69, v46, s[4:5]
	global_load_dword v152, v46, s[4:5] offset:4032
	global_load_dword v153, v46, s[4:5] offset:448
	;; [unrolled: 1-line block ×4, first 2 shown]
	v_mov_b32_e32 v40, s5
	v_add_co_u32_e64 v41, s[0:1], s4, v46
	s_movk_i32 s6, 0x1000
	v_addc_co_u32_e64 v40, s[0:1], 0, v40, s[0:1]
	v_add_co_u32_e64 v44, s[0:1], s6, v41
	v_addc_co_u32_e64 v45, s[0:1], 0, v40, s[0:1]
	global_load_dword v156, v[44:45], off offset:384
	global_load_dword v157, v[44:45], off offset:832
	;; [unrolled: 1-line block ×3, first 2 shown]
	global_load_dword v159, v46, s[4:5] offset:1792
	global_load_dword v160, v[44:45], off offset:1728
	global_load_dword v161, v46, s[4:5] offset:2240
	v_add_u32_e32 v41, 0xc00, v48
	ds_read2_b32 v[142:143], v48 offset1:112
	v_add_u32_e32 v40, 0x1000, v48
	v_add_u32_e32 v42, 0x200, v48
	;; [unrolled: 1-line block ×3, first 2 shown]
	ds_read2_b32 v[144:145], v41 offset0:128 offset1:240
	ds_read2_b32 v[146:147], v40 offset0:96 offset1:208
	;; [unrolled: 1-line block ×4, first 2 shown]
	global_load_dword v162, v46, s[4:5] offset:2688
	global_load_dword v163, v46, s[4:5] offset:3136
	s_nop 0
	global_load_dword v80, v80, s[4:5]
	s_nop 0
	global_load_dword v164, v[44:45], off offset:2176
	global_load_dword v167, v46, s[4:5] offset:3584
	global_load_dword v168, v[44:45], off offset:2624
	global_load_dword v169, v[44:45], off offset:3520
	s_waitcnt lgkmcnt(4)
	v_lshrrev_b32_e32 v165, 16, v142
	v_lshrrev_b32_e32 v166, 16, v143
	s_waitcnt lgkmcnt(3)
	v_lshrrev_b32_e32 v44, 16, v145
	s_waitcnt lgkmcnt(1)
	v_lshrrev_b32_e32 v46, 16, v148
	v_lshrrev_b32_e32 v171, 16, v149
	;; [unrolled: 1-line block ×4, first 2 shown]
	s_waitcnt lgkmcnt(0)
	v_lshrrev_b32_e32 v172, 16, v150
	s_mov_b32 s0, 0xbaee
	s_movk_i32 s1, 0x3aee
	s_waitcnt vmcnt(17)
	v_mul_f16_sdwa v173, v165, v69 dst_sel:DWORD dst_unused:UNUSED_PAD src0_sel:DWORD src1_sel:WORD_1
	v_mul_f16_sdwa v174, v142, v69 dst_sel:DWORD dst_unused:UNUSED_PAD src0_sel:DWORD src1_sel:WORD_1
	s_waitcnt vmcnt(16)
	v_mul_f16_sdwa v175, v44, v152 dst_sel:DWORD dst_unused:UNUSED_PAD src0_sel:DWORD src1_sel:WORD_1
	v_mul_f16_sdwa v176, v145, v152 dst_sel:DWORD dst_unused:UNUSED_PAD src0_sel:DWORD src1_sel:WORD_1
	;; [unrolled: 3-line block ×5, first 2 shown]
	v_fma_f16 v142, v142, v69, -v173
	v_fma_f16 v69, v165, v69, v174
	v_fma_f16 v145, v145, v152, -v175
	v_fma_f16 v44, v44, v152, v176
	;; [unrolled: 2-line block ×5, first 2 shown]
	v_pack_b32_f16 v69, v142, v69
	v_pack_b32_f16 v154, v145, v44
	;; [unrolled: 1-line block ×5, first 2 shown]
	ds_write2_b32 v48, v69, v44 offset1:112
	s_waitcnt vmcnt(12)
	v_mul_f16_sdwa v44, v45, v156 dst_sel:DWORD dst_unused:UNUSED_PAD src0_sel:DWORD src1_sel:WORD_1
	v_mul_f16_sdwa v69, v146, v156 dst_sel:DWORD dst_unused:UNUSED_PAD src0_sel:DWORD src1_sel:WORD_1
	s_waitcnt vmcnt(11)
	v_mul_f16_sdwa v143, v170, v157 dst_sel:DWORD dst_unused:UNUSED_PAD src0_sel:DWORD src1_sel:WORD_1
	v_mul_f16_sdwa v145, v147, v157 dst_sel:DWORD dst_unused:UNUSED_PAD src0_sel:DWORD src1_sel:WORD_1
	ds_write2_b32 v42, v46, v142 offset0:96 offset1:208
	v_fma_f16 v44, v146, v156, -v44
	v_fma_f16 v45, v45, v156, v69
	v_fma_f16 v46, v147, v157, -v143
	v_fma_f16 v69, v170, v157, v145
	v_pack_b32_f16 v44, v44, v45
	v_pack_b32_f16 v45, v46, v69
	ds_write2_b32 v40, v44, v45 offset0:96 offset1:208
	v_add_u32_e32 v44, 0x600, v48
	ds_read2_b32 v[45:46], v44 offset0:64 offset1:176
	s_waitcnt vmcnt(10)
	v_mul_f16_sdwa v69, v172, v158 dst_sel:DWORD dst_unused:UNUSED_PAD src0_sel:DWORD src1_sel:WORD_1
	v_mul_f16_sdwa v142, v150, v158 dst_sel:DWORD dst_unused:UNUSED_PAD src0_sel:DWORD src1_sel:WORD_1
	v_fma_f16 v69, v150, v158, -v69
	v_fma_f16 v142, v172, v158, v142
	v_pack_b32_f16 v69, v69, v142
	s_waitcnt lgkmcnt(0)
	v_lshrrev_b32_e32 v142, 16, v45
	s_waitcnt vmcnt(9)
	v_mul_f16_sdwa v143, v142, v159 dst_sel:DWORD dst_unused:UNUSED_PAD src0_sel:DWORD src1_sel:WORD_1
	v_fma_f16 v143, v45, v159, -v143
	v_mul_f16_sdwa v45, v45, v159 dst_sel:DWORD dst_unused:UNUSED_PAD src0_sel:DWORD src1_sel:WORD_1
	v_fma_f16 v45, v142, v159, v45
	v_pack_b32_f16 v145, v143, v45
	v_lshrrev_b32_e32 v45, 16, v151
	s_waitcnt vmcnt(8)
	v_mul_f16_sdwa v142, v45, v160 dst_sel:DWORD dst_unused:UNUSED_PAD src0_sel:DWORD src1_sel:WORD_1
	v_mul_f16_sdwa v143, v151, v160 dst_sel:DWORD dst_unused:UNUSED_PAD src0_sel:DWORD src1_sel:WORD_1
	v_fma_f16 v142, v151, v160, -v142
	v_fma_f16 v45, v45, v160, v143
	v_pack_b32_f16 v45, v142, v45
	ds_write2_b32 v43, v69, v45 offset0:64 offset1:176
	v_lshrrev_b32_e32 v69, 16, v46
	s_waitcnt vmcnt(7)
	v_mul_f16_sdwa v45, v69, v161 dst_sel:DWORD dst_unused:UNUSED_PAD src0_sel:DWORD src1_sel:WORD_1
	v_fma_f16 v146, v46, v161, -v45
	v_add_u32_e32 v45, 0x1800, v48
	ds_read2_b32 v[142:143], v45 offset0:32 offset1:144
	v_mul_f16_sdwa v46, v46, v161 dst_sel:DWORD dst_unused:UNUSED_PAD src0_sel:DWORD src1_sel:WORD_1
	v_fma_f16 v46, v69, v161, v46
	v_pack_b32_f16 v46, v146, v46
	v_add_u32_e32 v69, 0xa00, v48
	ds_write2_b32 v44, v145, v46 offset0:64 offset1:176
	ds_read2_b32 v[145:146], v69 offset0:32 offset1:144
	s_waitcnt lgkmcnt(2)
	v_lshrrev_b32_e32 v46, 16, v142
	s_waitcnt vmcnt(3)
	v_mul_f16_sdwa v147, v46, v164 dst_sel:DWORD dst_unused:UNUSED_PAD src0_sel:DWORD src1_sel:WORD_1
	v_fma_f16 v147, v142, v164, -v147
	v_mul_f16_sdwa v142, v142, v164 dst_sel:DWORD dst_unused:UNUSED_PAD src0_sel:DWORD src1_sel:WORD_1
	v_fma_f16 v46, v46, v164, v142
	s_waitcnt lgkmcnt(0)
	v_lshrrev_b32_e32 v142, 16, v145
	v_pack_b32_f16 v46, v147, v46
	v_mul_f16_sdwa v147, v142, v162 dst_sel:DWORD dst_unused:UNUSED_PAD src0_sel:DWORD src1_sel:WORD_1
	v_fma_f16 v147, v145, v162, -v147
	v_mul_f16_sdwa v145, v145, v162 dst_sel:DWORD dst_unused:UNUSED_PAD src0_sel:DWORD src1_sel:WORD_1
	v_fma_f16 v142, v142, v162, v145
	v_pack_b32_f16 v145, v147, v142
	v_lshrrev_b32_e32 v142, 16, v143
	s_waitcnt vmcnt(1)
	v_mul_f16_sdwa v147, v142, v168 dst_sel:DWORD dst_unused:UNUSED_PAD src0_sel:DWORD src1_sel:WORD_1
	v_fma_f16 v147, v143, v168, -v147
	v_mul_f16_sdwa v143, v143, v168 dst_sel:DWORD dst_unused:UNUSED_PAD src0_sel:DWORD src1_sel:WORD_1
	v_fma_f16 v142, v142, v168, v143
	v_pack_b32_f16 v142, v147, v142
	v_lshrrev_b32_e32 v147, 16, v146
	ds_write2_b32 v45, v46, v142 offset0:32 offset1:144
	v_mul_f16_sdwa v46, v147, v163 dst_sel:DWORD dst_unused:UNUSED_PAD src0_sel:DWORD src1_sel:WORD_1
	v_fma_f16 v148, v146, v163, -v46
	v_add_u32_e32 v46, 0x1c00, v48
	ds_read2_b32 v[142:143], v46 offset1:112
	v_mul_f16_sdwa v146, v146, v163 dst_sel:DWORD dst_unused:UNUSED_PAD src0_sel:DWORD src1_sel:WORD_1
	v_fma_f16 v146, v147, v163, v146
	v_pack_b32_f16 v146, v148, v146
	ds_write2_b32 v69, v145, v146 offset0:32 offset1:144
	s_waitcnt lgkmcnt(1)
	v_lshrrev_b32_e32 v145, 16, v142
	v_mul_f16_sdwa v146, v145, v80 dst_sel:DWORD dst_unused:UNUSED_PAD src0_sel:DWORD src1_sel:WORD_1
	v_fma_f16 v146, v142, v80, -v146
	v_mul_f16_sdwa v142, v142, v80 dst_sel:DWORD dst_unused:UNUSED_PAD src0_sel:DWORD src1_sel:WORD_1
	v_fma_f16 v80, v145, v80, v142
	v_lshrrev_b32_e32 v142, 16, v144
	v_mul_f16_sdwa v145, v142, v167 dst_sel:DWORD dst_unused:UNUSED_PAD src0_sel:DWORD src1_sel:WORD_1
	v_fma_f16 v145, v144, v167, -v145
	v_mul_f16_sdwa v144, v144, v167 dst_sel:DWORD dst_unused:UNUSED_PAD src0_sel:DWORD src1_sel:WORD_1
	v_fma_f16 v142, v142, v167, v144
	v_pack_b32_f16 v142, v145, v142
	ds_write2_b32 v41, v142, v154 offset0:128 offset1:240
	v_lshrrev_b32_e32 v142, 16, v143
	s_waitcnt vmcnt(0)
	v_mul_f16_sdwa v144, v142, v169 dst_sel:DWORD dst_unused:UNUSED_PAD src0_sel:DWORD src1_sel:WORD_1
	v_fma_f16 v144, v143, v169, -v144
	v_mul_f16_sdwa v143, v143, v169 dst_sel:DWORD dst_unused:UNUSED_PAD src0_sel:DWORD src1_sel:WORD_1
	v_fma_f16 v142, v142, v169, v143
	v_pack_b32_f16 v80, v146, v80
	v_pack_b32_f16 v142, v144, v142
	ds_write2_b32 v46, v80, v142 offset1:112
	s_waitcnt lgkmcnt(0)
	s_barrier
	ds_read2_b32 v[142:143], v48 offset1:112
	ds_read2_b32 v[144:145], v41 offset0:128 offset1:240
	ds_read2_b32 v[146:147], v40 offset0:96 offset1:208
	;; [unrolled: 1-line block ×7, first 2 shown]
	s_waitcnt lgkmcnt(6)
	v_pk_add_f16 v149, v142, v145 neg_lo:[0,1] neg_hi:[0,1]
	s_waitcnt lgkmcnt(3)
	v_pk_add_f16 v159, v154, v153 neg_lo:[0,1] neg_hi:[0,1]
	v_pk_fma_f16 v158, v154, 2.0, v159 op_sel_hi:[1,0,1] neg_lo:[0,0,1] neg_hi:[0,0,1]
	ds_read2_b32 v[153:154], v46 offset1:112
	v_pk_add_f16 v146, v143, v146 neg_lo:[0,1] neg_hi:[0,1]
	v_pk_fma_f16 v148, v142, 2.0, v149 op_sel_hi:[1,0,1] neg_lo:[0,0,1] neg_hi:[0,0,1]
	v_pk_fma_f16 v145, v143, 2.0, v146 op_sel_hi:[1,0,1] neg_lo:[0,0,1] neg_hi:[0,0,1]
	s_waitcnt lgkmcnt(3)
	v_pk_add_f16 v143, v150, v147 neg_lo:[0,1] neg_hi:[0,1]
	v_pk_add_f16 v152, v151, v152 neg_lo:[0,1] neg_hi:[0,1]
	s_waitcnt lgkmcnt(2)
	v_pk_add_f16 v156, v155, v156 neg_lo:[0,1] neg_hi:[0,1]
	s_waitcnt lgkmcnt(1)
	;; [unrolled: 2-line block ×3, first 2 shown]
	v_pk_add_f16 v165, v161, v153 neg_lo:[0,1] neg_hi:[0,1]
	v_pk_add_f16 v154, v144, v154 neg_lo:[0,1] neg_hi:[0,1]
	v_pk_fma_f16 v142, v150, 2.0, v143 op_sel_hi:[1,0,1] neg_lo:[0,0,1] neg_hi:[0,0,1]
	v_pk_fma_f16 v151, v151, 2.0, v152 op_sel_hi:[1,0,1] neg_lo:[0,0,1] neg_hi:[0,0,1]
	;; [unrolled: 1-line block ×6, first 2 shown]
	s_barrier
	ds_write_b64 v73, v[148:149]
	ds_write_b64 v71, v[145:146]
	ds_write_b64 v77, v[142:143]
	ds_write_b64 v74, v[151:152]
	ds_write_b64 v75, v[158:159]
	ds_write_b64 v72, v[155:156]
	ds_write_b64 v76, v[162:163]
	ds_write_b64 v78, v[164:165]
	ds_write_b64 v79, v[153:154]
	s_waitcnt lgkmcnt(0)
	s_barrier
	ds_read2_b32 v[71:72], v48 offset1:112
	ds_read2_b32 v[73:74], v41 offset0:128 offset1:240
	ds_read2_b32 v[75:76], v40 offset0:96 offset1:208
	;; [unrolled: 1-line block ×7, first 2 shown]
	s_waitcnt lgkmcnt(6)
	v_lshrrev_b32_e32 v151, 16, v74
	v_mul_f16_sdwa v168, v70, v151 dst_sel:DWORD dst_unused:UNUSED_PAD src0_sel:WORD_1 src1_sel:DWORD
	s_waitcnt lgkmcnt(5)
	v_lshrrev_b32_e32 v153, 16, v75
	v_fma_f16 v168, v70, v74, v168
	v_mul_f16_sdwa v74, v70, v74 dst_sel:DWORD dst_unused:UNUSED_PAD src0_sel:WORD_1 src1_sel:DWORD
	v_fma_f16 v74, v70, v151, -v74
	v_mul_f16_sdwa v151, v70, v153 dst_sel:DWORD dst_unused:UNUSED_PAD src0_sel:WORD_1 src1_sel:DWORD
	v_lshrrev_b32_e32 v155, 16, v76
	v_fma_f16 v151, v70, v75, v151
	v_mul_f16_sdwa v75, v70, v75 dst_sel:DWORD dst_unused:UNUSED_PAD src0_sel:WORD_1 src1_sel:DWORD
	v_fma_f16 v75, v70, v153, -v75
	v_mul_f16_sdwa v153, v70, v155 dst_sel:DWORD dst_unused:UNUSED_PAD src0_sel:WORD_1 src1_sel:DWORD
	s_waitcnt lgkmcnt(3)
	v_lshrrev_b32_e32 v157, 16, v79
	v_fma_f16 v153, v70, v76, v153
	v_mul_f16_sdwa v76, v70, v76 dst_sel:DWORD dst_unused:UNUSED_PAD src0_sel:WORD_1 src1_sel:DWORD
	v_fma_f16 v76, v70, v155, -v76
	v_mul_f16_sdwa v155, v70, v157 dst_sel:DWORD dst_unused:UNUSED_PAD src0_sel:WORD_1 src1_sel:DWORD
	v_lshrrev_b32_e32 v159, 16, v80
	v_fma_f16 v155, v70, v79, v155
	v_mul_f16_sdwa v79, v70, v79 dst_sel:DWORD dst_unused:UNUSED_PAD src0_sel:WORD_1 src1_sel:DWORD
	ds_read2_b32 v[148:149], v46 offset1:112
	v_fma_f16 v79, v70, v157, -v79
	v_mul_f16_sdwa v157, v70, v159 dst_sel:DWORD dst_unused:UNUSED_PAD src0_sel:WORD_1 src1_sel:DWORD
	s_waitcnt lgkmcnt(2)
	v_lshrrev_b32_e32 v161, 16, v144
	v_fma_f16 v157, v70, v80, v157
	v_mul_f16_sdwa v80, v70, v80 dst_sel:DWORD dst_unused:UNUSED_PAD src0_sel:WORD_1 src1_sel:DWORD
	v_fma_f16 v80, v70, v159, -v80
	v_mul_f16_sdwa v159, v70, v161 dst_sel:DWORD dst_unused:UNUSED_PAD src0_sel:WORD_1 src1_sel:DWORD
	v_lshrrev_b32_e32 v163, 16, v145
	v_fma_f16 v159, v70, v144, v159
	v_mul_f16_sdwa v144, v70, v144 dst_sel:DWORD dst_unused:UNUSED_PAD src0_sel:WORD_1 src1_sel:DWORD
	v_fma_f16 v144, v70, v161, -v144
	v_mul_f16_sdwa v161, v70, v163 dst_sel:DWORD dst_unused:UNUSED_PAD src0_sel:WORD_1 src1_sel:DWORD
	s_waitcnt lgkmcnt(0)
	v_lshrrev_b32_e32 v165, 16, v148
	v_fma_f16 v161, v70, v145, v161
	v_mul_f16_sdwa v145, v70, v145 dst_sel:DWORD dst_unused:UNUSED_PAD src0_sel:WORD_1 src1_sel:DWORD
	v_fma_f16 v145, v70, v163, -v145
	v_mul_f16_sdwa v163, v70, v165 dst_sel:DWORD dst_unused:UNUSED_PAD src0_sel:WORD_1 src1_sel:DWORD
	v_lshrrev_b32_e32 v167, 16, v149
	v_fma_f16 v163, v70, v148, v163
	v_mul_f16_sdwa v148, v70, v148 dst_sel:DWORD dst_unused:UNUSED_PAD src0_sel:WORD_1 src1_sel:DWORD
	v_fma_f16 v148, v70, v165, -v148
	v_mul_f16_sdwa v165, v70, v167 dst_sel:DWORD dst_unused:UNUSED_PAD src0_sel:WORD_1 src1_sel:DWORD
	v_lshrrev_b32_e32 v150, 16, v71
	v_fma_f16 v165, v70, v149, v165
	v_mul_f16_sdwa v149, v70, v149 dst_sel:DWORD dst_unused:UNUSED_PAD src0_sel:WORD_1 src1_sel:DWORD
	v_lshrrev_b32_e32 v152, 16, v72
	v_fma_f16 v70, v70, v167, -v149
	v_sub_f16_e32 v149, v71, v168
	v_sub_f16_e32 v74, v150, v74
	v_lshrrev_b32_e32 v154, 16, v77
	v_fma_f16 v71, v71, 2.0, -v149
	v_fma_f16 v150, v150, 2.0, -v74
	v_sub_f16_e32 v151, v72, v151
	v_sub_f16_e32 v75, v152, v75
	v_lshrrev_b32_e32 v156, 16, v78
	v_fma_f16 v72, v72, 2.0, -v151
	v_fma_f16 v152, v152, 2.0, -v75
	v_sub_f16_e32 v153, v77, v153
	v_sub_f16_e32 v76, v154, v76
	v_pack_b32_f16 v71, v71, v150
	v_pack_b32_f16 v74, v149, v74
	v_lshrrev_b32_e32 v158, 16, v142
	v_fma_f16 v77, v77, 2.0, -v153
	v_fma_f16 v154, v154, 2.0, -v76
	v_sub_f16_e32 v155, v78, v155
	v_sub_f16_e32 v79, v156, v79
	s_barrier
	ds_write2_b32 v81, v71, v74 offset1:2
	v_pack_b32_f16 v71, v72, v152
	v_pack_b32_f16 v72, v151, v75
	v_lshrrev_b32_e32 v160, 16, v143
	v_fma_f16 v78, v78, 2.0, -v155
	v_fma_f16 v156, v156, 2.0, -v79
	v_sub_f16_e32 v157, v142, v157
	v_sub_f16_e32 v80, v158, v80
	ds_write2_b32 v82, v71, v72 offset1:2
	v_pack_b32_f16 v71, v77, v154
	v_pack_b32_f16 v72, v153, v76
	v_lshrrev_b32_e32 v162, 16, v146
	v_fma_f16 v142, v142, 2.0, -v157
	v_fma_f16 v158, v158, 2.0, -v80
	v_sub_f16_e32 v159, v143, v159
	v_sub_f16_e32 v144, v160, v144
	;; [unrolled: 8-line block ×4, first 2 shown]
	ds_write2_b32 v85, v71, v72 offset1:2
	v_pack_b32_f16 v71, v143, v160
	v_pack_b32_f16 v72, v159, v144
	v_fma_f16 v147, v147, 2.0, -v163
	v_fma_f16 v164, v164, 2.0, -v148
	v_sub_f16_e32 v165, v73, v165
	v_sub_f16_e32 v70, v166, v70
	ds_write2_b32 v87, v71, v72 offset1:2
	v_pack_b32_f16 v71, v146, v162
	v_pack_b32_f16 v72, v161, v145
	v_fma_f16 v73, v73, 2.0, -v165
	v_fma_f16 v166, v166, 2.0, -v70
	ds_write2_b32 v88, v71, v72 offset1:2
	v_pack_b32_f16 v71, v147, v164
	v_pack_b32_f16 v72, v163, v148
	ds_write2_b32 v89, v71, v72 offset1:2
	v_pack_b32_f16 v71, v73, v166
	v_pack_b32_f16 v70, v165, v70
	ds_write2_b32 v90, v71, v70 offset1:2
	s_waitcnt lgkmcnt(0)
	s_barrier
	ds_read2_b32 v[70:71], v48 offset1:112
	ds_read2_b32 v[72:73], v41 offset0:128 offset1:240
	ds_read2_b32 v[74:75], v40 offset0:96 offset1:208
	;; [unrolled: 1-line block ×7, first 2 shown]
	s_waitcnt lgkmcnt(6)
	v_lshrrev_b32_e32 v90, 16, v73
	v_mul_f16_sdwa v158, v86, v90 dst_sel:DWORD dst_unused:UNUSED_PAD src0_sel:WORD_1 src1_sel:DWORD
	s_waitcnt lgkmcnt(5)
	v_lshrrev_b32_e32 v143, 16, v74
	v_fma_f16 v158, v86, v73, v158
	v_mul_f16_sdwa v73, v86, v73 dst_sel:DWORD dst_unused:UNUSED_PAD src0_sel:WORD_1 src1_sel:DWORD
	v_fma_f16 v73, v86, v90, -v73
	v_mul_f16_sdwa v90, v86, v143 dst_sel:DWORD dst_unused:UNUSED_PAD src0_sel:WORD_1 src1_sel:DWORD
	v_lshrrev_b32_e32 v145, 16, v75
	v_fma_f16 v90, v86, v74, v90
	v_mul_f16_sdwa v74, v86, v74 dst_sel:DWORD dst_unused:UNUSED_PAD src0_sel:WORD_1 src1_sel:DWORD
	v_fma_f16 v74, v86, v143, -v74
	v_mul_f16_sdwa v143, v86, v145 dst_sel:DWORD dst_unused:UNUSED_PAD src0_sel:WORD_1 src1_sel:DWORD
	s_waitcnt lgkmcnt(3)
	v_lshrrev_b32_e32 v147, 16, v78
	v_fma_f16 v143, v86, v75, v143
	v_mul_f16_sdwa v75, v86, v75 dst_sel:DWORD dst_unused:UNUSED_PAD src0_sel:WORD_1 src1_sel:DWORD
	v_fma_f16 v75, v86, v145, -v75
	v_mul_f16_sdwa v145, v86, v147 dst_sel:DWORD dst_unused:UNUSED_PAD src0_sel:WORD_1 src1_sel:DWORD
	v_lshrrev_b32_e32 v149, 16, v79
	v_fma_f16 v145, v86, v78, v145
	v_mul_f16_sdwa v78, v86, v78 dst_sel:DWORD dst_unused:UNUSED_PAD src0_sel:WORD_1 src1_sel:DWORD
	ds_read2_b32 v[87:88], v46 offset1:112
	v_fma_f16 v78, v86, v147, -v78
	v_mul_f16_sdwa v147, v86, v149 dst_sel:DWORD dst_unused:UNUSED_PAD src0_sel:WORD_1 src1_sel:DWORD
	s_waitcnt lgkmcnt(2)
	v_lshrrev_b32_e32 v151, 16, v82
	v_fma_f16 v147, v86, v79, v147
	v_mul_f16_sdwa v79, v86, v79 dst_sel:DWORD dst_unused:UNUSED_PAD src0_sel:WORD_1 src1_sel:DWORD
	v_fma_f16 v79, v86, v149, -v79
	v_mul_f16_sdwa v149, v86, v151 dst_sel:DWORD dst_unused:UNUSED_PAD src0_sel:WORD_1 src1_sel:DWORD
	v_lshrrev_b32_e32 v153, 16, v83
	v_fma_f16 v149, v86, v82, v149
	v_mul_f16_sdwa v82, v86, v82 dst_sel:DWORD dst_unused:UNUSED_PAD src0_sel:WORD_1 src1_sel:DWORD
	v_fma_f16 v82, v86, v151, -v82
	v_mul_f16_sdwa v151, v86, v153 dst_sel:DWORD dst_unused:UNUSED_PAD src0_sel:WORD_1 src1_sel:DWORD
	s_waitcnt lgkmcnt(0)
	v_lshrrev_b32_e32 v155, 16, v87
	v_fma_f16 v151, v86, v83, v151
	v_mul_f16_sdwa v83, v86, v83 dst_sel:DWORD dst_unused:UNUSED_PAD src0_sel:WORD_1 src1_sel:DWORD
	v_fma_f16 v83, v86, v153, -v83
	v_mul_f16_sdwa v153, v86, v155 dst_sel:DWORD dst_unused:UNUSED_PAD src0_sel:WORD_1 src1_sel:DWORD
	v_lshrrev_b32_e32 v157, 16, v88
	v_fma_f16 v153, v86, v87, v153
	v_mul_f16_sdwa v87, v86, v87 dst_sel:DWORD dst_unused:UNUSED_PAD src0_sel:WORD_1 src1_sel:DWORD
	v_fma_f16 v87, v86, v155, -v87
	v_mul_f16_sdwa v155, v86, v157 dst_sel:DWORD dst_unused:UNUSED_PAD src0_sel:WORD_1 src1_sel:DWORD
	v_lshrrev_b32_e32 v89, 16, v70
	v_fma_f16 v155, v86, v88, v155
	v_mul_f16_sdwa v88, v86, v88 dst_sel:DWORD dst_unused:UNUSED_PAD src0_sel:WORD_1 src1_sel:DWORD
	v_lshrrev_b32_e32 v142, 16, v71
	v_fma_f16 v86, v86, v157, -v88
	v_sub_f16_e32 v88, v70, v158
	v_sub_f16_e32 v73, v89, v73
	v_lshrrev_b32_e32 v144, 16, v76
	v_fma_f16 v70, v70, 2.0, -v88
	v_fma_f16 v89, v89, 2.0, -v73
	v_sub_f16_e32 v90, v71, v90
	v_sub_f16_e32 v74, v142, v74
	v_lshrrev_b32_e32 v146, 16, v77
	v_fma_f16 v71, v71, 2.0, -v90
	v_fma_f16 v142, v142, 2.0, -v74
	v_sub_f16_e32 v143, v76, v143
	v_sub_f16_e32 v75, v144, v75
	v_pack_b32_f16 v70, v70, v89
	v_pack_b32_f16 v73, v88, v73
	v_lshrrev_b32_e32 v148, 16, v80
	v_fma_f16 v76, v76, 2.0, -v143
	v_fma_f16 v144, v144, 2.0, -v75
	v_sub_f16_e32 v145, v77, v145
	v_sub_f16_e32 v78, v146, v78
	s_barrier
	ds_write2_b32 v91, v70, v73 offset1:4
	v_pack_b32_f16 v70, v71, v142
	v_pack_b32_f16 v71, v90, v74
	v_lshrrev_b32_e32 v150, 16, v81
	v_fma_f16 v77, v77, 2.0, -v145
	v_fma_f16 v146, v146, 2.0, -v78
	v_sub_f16_e32 v147, v80, v147
	v_sub_f16_e32 v79, v148, v79
	ds_write2_b32 v92, v70, v71 offset1:4
	v_pack_b32_f16 v70, v76, v144
	v_pack_b32_f16 v71, v143, v75
	v_lshrrev_b32_e32 v152, 16, v84
	v_fma_f16 v80, v80, 2.0, -v147
	v_fma_f16 v148, v148, 2.0, -v79
	v_sub_f16_e32 v149, v81, v149
	v_sub_f16_e32 v82, v150, v82
	;; [unrolled: 8-line block ×4, first 2 shown]
	ds_write2_b32 v95, v70, v71 offset1:4
	v_pack_b32_f16 v70, v81, v150
	v_pack_b32_f16 v71, v149, v82
	v_fma_f16 v85, v85, 2.0, -v153
	v_fma_f16 v154, v154, 2.0, -v87
	v_sub_f16_e32 v155, v72, v155
	v_sub_f16_e32 v86, v156, v86
	ds_write2_b32 v97, v70, v71 offset1:4
	v_pack_b32_f16 v70, v84, v152
	v_pack_b32_f16 v71, v151, v83
	v_fma_f16 v72, v72, 2.0, -v155
	v_fma_f16 v156, v156, 2.0, -v86
	ds_write2_b32 v98, v70, v71 offset1:4
	v_pack_b32_f16 v70, v85, v154
	v_pack_b32_f16 v71, v153, v87
	ds_write2_b32 v99, v70, v71 offset1:4
	v_pack_b32_f16 v70, v72, v156
	v_pack_b32_f16 v71, v155, v86
	ds_write2_b32 v100, v70, v71 offset1:4
	s_waitcnt lgkmcnt(0)
	s_barrier
	ds_read2_b32 v[70:71], v48 offset1:112
	ds_read2_b32 v[72:73], v41 offset0:128 offset1:240
	ds_read2_b32 v[74:75], v40 offset0:96 offset1:208
	;; [unrolled: 1-line block ×7, first 2 shown]
	s_waitcnt lgkmcnt(6)
	v_lshrrev_b32_e32 v89, 16, v73
	v_mul_f16_sdwa v148, v96, v89 dst_sel:DWORD dst_unused:UNUSED_PAD src0_sel:WORD_1 src1_sel:DWORD
	s_waitcnt lgkmcnt(5)
	v_lshrrev_b32_e32 v91, 16, v74
	v_fma_f16 v148, v96, v73, v148
	v_mul_f16_sdwa v73, v96, v73 dst_sel:DWORD dst_unused:UNUSED_PAD src0_sel:WORD_1 src1_sel:DWORD
	v_fma_f16 v73, v96, v89, -v73
	v_mul_f16_sdwa v89, v96, v91 dst_sel:DWORD dst_unused:UNUSED_PAD src0_sel:WORD_1 src1_sel:DWORD
	v_lshrrev_b32_e32 v93, 16, v75
	v_fma_f16 v89, v96, v74, v89
	v_mul_f16_sdwa v74, v96, v74 dst_sel:DWORD dst_unused:UNUSED_PAD src0_sel:WORD_1 src1_sel:DWORD
	v_fma_f16 v74, v96, v91, -v74
	v_mul_f16_sdwa v91, v96, v93 dst_sel:DWORD dst_unused:UNUSED_PAD src0_sel:WORD_1 src1_sel:DWORD
	s_waitcnt lgkmcnt(3)
	v_lshrrev_b32_e32 v95, 16, v78
	v_fma_f16 v91, v96, v75, v91
	v_mul_f16_sdwa v75, v96, v75 dst_sel:DWORD dst_unused:UNUSED_PAD src0_sel:WORD_1 src1_sel:DWORD
	v_fma_f16 v75, v96, v93, -v75
	v_mul_f16_sdwa v93, v96, v95 dst_sel:DWORD dst_unused:UNUSED_PAD src0_sel:WORD_1 src1_sel:DWORD
	v_lshrrev_b32_e32 v98, 16, v79
	v_fma_f16 v93, v96, v78, v93
	v_mul_f16_sdwa v78, v96, v78 dst_sel:DWORD dst_unused:UNUSED_PAD src0_sel:WORD_1 src1_sel:DWORD
	ds_read2_b32 v[86:87], v46 offset1:112
	v_fma_f16 v78, v96, v95, -v78
	v_mul_f16_sdwa v95, v96, v98 dst_sel:DWORD dst_unused:UNUSED_PAD src0_sel:WORD_1 src1_sel:DWORD
	s_waitcnt lgkmcnt(2)
	v_lshrrev_b32_e32 v100, 16, v82
	v_fma_f16 v95, v96, v79, v95
	v_mul_f16_sdwa v79, v96, v79 dst_sel:DWORD dst_unused:UNUSED_PAD src0_sel:WORD_1 src1_sel:DWORD
	v_fma_f16 v79, v96, v98, -v79
	v_mul_f16_sdwa v98, v96, v100 dst_sel:DWORD dst_unused:UNUSED_PAD src0_sel:WORD_1 src1_sel:DWORD
	v_lshrrev_b32_e32 v143, 16, v83
	v_fma_f16 v98, v96, v82, v98
	v_mul_f16_sdwa v82, v96, v82 dst_sel:DWORD dst_unused:UNUSED_PAD src0_sel:WORD_1 src1_sel:DWORD
	v_fma_f16 v82, v96, v100, -v82
	v_mul_f16_sdwa v100, v96, v143 dst_sel:DWORD dst_unused:UNUSED_PAD src0_sel:WORD_1 src1_sel:DWORD
	s_waitcnt lgkmcnt(0)
	v_lshrrev_b32_e32 v145, 16, v86
	v_fma_f16 v100, v96, v83, v100
	v_mul_f16_sdwa v83, v96, v83 dst_sel:DWORD dst_unused:UNUSED_PAD src0_sel:WORD_1 src1_sel:DWORD
	v_fma_f16 v83, v96, v143, -v83
	v_mul_f16_sdwa v143, v96, v145 dst_sel:DWORD dst_unused:UNUSED_PAD src0_sel:WORD_1 src1_sel:DWORD
	v_lshrrev_b32_e32 v147, 16, v87
	v_fma_f16 v143, v96, v86, v143
	v_mul_f16_sdwa v86, v96, v86 dst_sel:DWORD dst_unused:UNUSED_PAD src0_sel:WORD_1 src1_sel:DWORD
	v_fma_f16 v86, v96, v145, -v86
	v_mul_f16_sdwa v145, v96, v147 dst_sel:DWORD dst_unused:UNUSED_PAD src0_sel:WORD_1 src1_sel:DWORD
	v_lshrrev_b32_e32 v88, 16, v70
	v_fma_f16 v145, v96, v87, v145
	v_mul_f16_sdwa v87, v96, v87 dst_sel:DWORD dst_unused:UNUSED_PAD src0_sel:WORD_1 src1_sel:DWORD
	v_lshrrev_b32_e32 v90, 16, v71
	v_fma_f16 v87, v96, v147, -v87
	v_sub_f16_e32 v96, v70, v148
	v_sub_f16_e32 v73, v88, v73
	v_lshrrev_b32_e32 v92, 16, v76
	v_fma_f16 v70, v70, 2.0, -v96
	v_fma_f16 v88, v88, 2.0, -v73
	v_sub_f16_e32 v89, v71, v89
	v_sub_f16_e32 v74, v90, v74
	v_lshrrev_b32_e32 v94, 16, v77
	v_fma_f16 v71, v71, 2.0, -v89
	v_fma_f16 v90, v90, 2.0, -v74
	v_sub_f16_e32 v91, v76, v91
	v_sub_f16_e32 v75, v92, v75
	v_pack_b32_f16 v70, v70, v88
	v_pack_b32_f16 v73, v96, v73
	v_lshrrev_b32_e32 v97, 16, v80
	v_fma_f16 v76, v76, 2.0, -v91
	v_fma_f16 v92, v92, 2.0, -v75
	v_sub_f16_e32 v93, v77, v93
	v_sub_f16_e32 v78, v94, v78
	s_barrier
	ds_write2_b32 v101, v70, v73 offset1:8
	v_pack_b32_f16 v70, v71, v90
	v_pack_b32_f16 v71, v89, v74
	v_lshrrev_b32_e32 v99, 16, v81
	v_fma_f16 v77, v77, 2.0, -v93
	v_fma_f16 v94, v94, 2.0, -v78
	v_sub_f16_e32 v95, v80, v95
	v_sub_f16_e32 v79, v97, v79
	ds_write2_b32 v102, v70, v71 offset1:8
	v_pack_b32_f16 v70, v76, v92
	v_pack_b32_f16 v71, v91, v75
	v_lshrrev_b32_e32 v142, 16, v84
	v_fma_f16 v80, v80, 2.0, -v95
	v_fma_f16 v97, v97, 2.0, -v79
	v_sub_f16_e32 v98, v81, v98
	v_sub_f16_e32 v82, v99, v82
	;; [unrolled: 8-line block ×4, first 2 shown]
	ds_write2_b32 v105, v70, v71 offset1:8
	v_pack_b32_f16 v70, v81, v99
	v_pack_b32_f16 v71, v98, v82
	v_fma_f16 v85, v85, 2.0, -v143
	v_fma_f16 v144, v144, 2.0, -v86
	v_sub_f16_e32 v145, v72, v145
	v_sub_f16_e32 v87, v146, v87
	ds_write2_b32 v107, v70, v71 offset1:8
	v_pack_b32_f16 v70, v84, v142
	v_pack_b32_f16 v71, v100, v83
	v_fma_f16 v72, v72, 2.0, -v145
	v_fma_f16 v146, v146, 2.0, -v87
	ds_write2_b32 v108, v70, v71 offset1:8
	v_pack_b32_f16 v70, v85, v144
	v_pack_b32_f16 v71, v143, v86
	ds_write2_b32 v109, v70, v71 offset1:8
	v_pack_b32_f16 v70, v72, v146
	v_pack_b32_f16 v71, v145, v87
	ds_write2_b32 v110, v70, v71 offset1:8
	s_waitcnt lgkmcnt(0)
	s_barrier
	ds_read2_b32 v[70:71], v48 offset1:112
	ds_read2_b32 v[72:73], v41 offset0:128 offset1:240
	ds_read2_b32 v[74:75], v40 offset0:96 offset1:208
	ds_read2_b32 v[76:77], v42 offset0:96 offset1:208
	ds_read2_b32 v[78:79], v43 offset0:64 offset1:176
	ds_read2_b32 v[80:81], v44 offset0:64 offset1:176
	ds_read2_b32 v[82:83], v45 offset0:32 offset1:144
	ds_read2_b32 v[84:85], v69 offset0:32 offset1:144
	s_waitcnt lgkmcnt(6)
	v_lshrrev_b32_e32 v89, 16, v73
	v_mul_f16_sdwa v107, v106, v89 dst_sel:DWORD dst_unused:UNUSED_PAD src0_sel:WORD_1 src1_sel:DWORD
	s_waitcnt lgkmcnt(5)
	v_lshrrev_b32_e32 v91, 16, v74
	v_fma_f16 v107, v106, v73, v107
	v_mul_f16_sdwa v73, v106, v73 dst_sel:DWORD dst_unused:UNUSED_PAD src0_sel:WORD_1 src1_sel:DWORD
	v_fma_f16 v73, v106, v89, -v73
	v_mul_f16_sdwa v89, v106, v91 dst_sel:DWORD dst_unused:UNUSED_PAD src0_sel:WORD_1 src1_sel:DWORD
	v_lshrrev_b32_e32 v93, 16, v75
	v_fma_f16 v89, v106, v74, v89
	v_mul_f16_sdwa v74, v106, v74 dst_sel:DWORD dst_unused:UNUSED_PAD src0_sel:WORD_1 src1_sel:DWORD
	v_fma_f16 v74, v106, v91, -v74
	v_mul_f16_sdwa v91, v106, v93 dst_sel:DWORD dst_unused:UNUSED_PAD src0_sel:WORD_1 src1_sel:DWORD
	s_waitcnt lgkmcnt(3)
	v_lshrrev_b32_e32 v95, 16, v78
	v_fma_f16 v91, v106, v75, v91
	v_mul_f16_sdwa v75, v106, v75 dst_sel:DWORD dst_unused:UNUSED_PAD src0_sel:WORD_1 src1_sel:DWORD
	v_fma_f16 v75, v106, v93, -v75
	v_mul_f16_sdwa v93, v106, v95 dst_sel:DWORD dst_unused:UNUSED_PAD src0_sel:WORD_1 src1_sel:DWORD
	v_lshrrev_b32_e32 v97, 16, v79
	v_fma_f16 v93, v106, v78, v93
	v_mul_f16_sdwa v78, v106, v78 dst_sel:DWORD dst_unused:UNUSED_PAD src0_sel:WORD_1 src1_sel:DWORD
	ds_read2_b32 v[86:87], v46 offset1:112
	v_fma_f16 v78, v106, v95, -v78
	v_mul_f16_sdwa v95, v106, v97 dst_sel:DWORD dst_unused:UNUSED_PAD src0_sel:WORD_1 src1_sel:DWORD
	s_waitcnt lgkmcnt(2)
	v_lshrrev_b32_e32 v99, 16, v82
	v_fma_f16 v95, v106, v79, v95
	v_mul_f16_sdwa v79, v106, v79 dst_sel:DWORD dst_unused:UNUSED_PAD src0_sel:WORD_1 src1_sel:DWORD
	v_fma_f16 v79, v106, v97, -v79
	v_mul_f16_sdwa v97, v106, v99 dst_sel:DWORD dst_unused:UNUSED_PAD src0_sel:WORD_1 src1_sel:DWORD
	v_lshrrev_b32_e32 v101, 16, v83
	v_fma_f16 v97, v106, v82, v97
	v_mul_f16_sdwa v82, v106, v82 dst_sel:DWORD dst_unused:UNUSED_PAD src0_sel:WORD_1 src1_sel:DWORD
	v_fma_f16 v82, v106, v99, -v82
	v_mul_f16_sdwa v99, v106, v101 dst_sel:DWORD dst_unused:UNUSED_PAD src0_sel:WORD_1 src1_sel:DWORD
	s_waitcnt lgkmcnt(0)
	v_lshrrev_b32_e32 v103, 16, v86
	v_fma_f16 v99, v106, v83, v99
	v_mul_f16_sdwa v83, v106, v83 dst_sel:DWORD dst_unused:UNUSED_PAD src0_sel:WORD_1 src1_sel:DWORD
	v_fma_f16 v83, v106, v101, -v83
	v_mul_f16_sdwa v101, v106, v103 dst_sel:DWORD dst_unused:UNUSED_PAD src0_sel:WORD_1 src1_sel:DWORD
	v_lshrrev_b32_e32 v105, 16, v87
	v_fma_f16 v101, v106, v86, v101
	v_mul_f16_sdwa v86, v106, v86 dst_sel:DWORD dst_unused:UNUSED_PAD src0_sel:WORD_1 src1_sel:DWORD
	v_fma_f16 v86, v106, v103, -v86
	v_mul_f16_sdwa v103, v106, v105 dst_sel:DWORD dst_unused:UNUSED_PAD src0_sel:WORD_1 src1_sel:DWORD
	v_lshrrev_b32_e32 v88, 16, v70
	v_fma_f16 v103, v106, v87, v103
	v_mul_f16_sdwa v87, v106, v87 dst_sel:DWORD dst_unused:UNUSED_PAD src0_sel:WORD_1 src1_sel:DWORD
	v_lshrrev_b32_e32 v90, 16, v71
	v_fma_f16 v87, v106, v105, -v87
	v_sub_f16_e32 v105, v70, v107
	v_sub_f16_e32 v73, v88, v73
	v_lshrrev_b32_e32 v92, 16, v76
	v_fma_f16 v70, v70, 2.0, -v105
	v_fma_f16 v88, v88, 2.0, -v73
	v_sub_f16_e32 v89, v71, v89
	v_sub_f16_e32 v74, v90, v74
	v_lshrrev_b32_e32 v94, 16, v77
	v_fma_f16 v71, v71, 2.0, -v89
	v_fma_f16 v90, v90, 2.0, -v74
	v_sub_f16_e32 v91, v76, v91
	v_sub_f16_e32 v75, v92, v75
	v_pack_b32_f16 v70, v70, v88
	v_pack_b32_f16 v73, v105, v73
	v_lshrrev_b32_e32 v96, 16, v80
	v_fma_f16 v76, v76, 2.0, -v91
	v_fma_f16 v92, v92, 2.0, -v75
	v_sub_f16_e32 v93, v77, v93
	v_sub_f16_e32 v78, v94, v78
	s_barrier
	ds_write2_b32 v111, v70, v73 offset1:16
	v_pack_b32_f16 v70, v71, v90
	v_pack_b32_f16 v71, v89, v74
	v_lshrrev_b32_e32 v98, 16, v81
	v_fma_f16 v77, v77, 2.0, -v93
	v_fma_f16 v94, v94, 2.0, -v78
	v_sub_f16_e32 v95, v80, v95
	v_sub_f16_e32 v79, v96, v79
	ds_write2_b32 v112, v70, v71 offset1:16
	v_pack_b32_f16 v70, v76, v92
	v_pack_b32_f16 v71, v91, v75
	v_lshrrev_b32_e32 v100, 16, v84
	v_fma_f16 v80, v80, 2.0, -v95
	v_fma_f16 v96, v96, 2.0, -v79
	v_sub_f16_e32 v97, v81, v97
	v_sub_f16_e32 v82, v98, v82
	;; [unrolled: 8-line block ×4, first 2 shown]
	ds_write2_b32 v115, v70, v71 offset1:16
	v_pack_b32_f16 v70, v81, v98
	v_pack_b32_f16 v71, v97, v82
	v_fma_f16 v85, v85, 2.0, -v101
	v_fma_f16 v102, v102, 2.0, -v86
	v_sub_f16_e32 v103, v72, v103
	v_sub_f16_e32 v87, v104, v87
	ds_write2_b32 v116, v70, v71 offset1:16
	v_pack_b32_f16 v70, v84, v100
	v_pack_b32_f16 v71, v99, v83
	v_fma_f16 v72, v72, 2.0, -v103
	v_fma_f16 v104, v104, 2.0, -v87
	ds_write2_b32 v117, v70, v71 offset1:16
	v_pack_b32_f16 v70, v85, v102
	v_pack_b32_f16 v71, v101, v86
	ds_write2_b32 v118, v70, v71 offset1:16
	v_pack_b32_f16 v70, v72, v104
	v_pack_b32_f16 v71, v103, v87
	ds_write2_b32 v119, v70, v71 offset1:16
	s_waitcnt lgkmcnt(0)
	s_barrier
	ds_read2_b32 v[70:71], v48 offset1:112
	ds_read2_b32 v[72:73], v69 offset0:32 offset1:144
	ds_read2_b32 v[74:75], v43 offset0:64 offset1:176
	;; [unrolled: 1-line block ×7, first 2 shown]
	ds_read2_b32 v[86:87], v46 offset1:112
	s_waitcnt lgkmcnt(8)
	v_lshrrev_b32_e32 v88, 16, v70
	s_waitcnt lgkmcnt(7)
	v_lshrrev_b32_e32 v89, 16, v72
	v_mul_f16_sdwa v106, v13, v89 dst_sel:DWORD dst_unused:UNUSED_PAD src0_sel:WORD_1 src1_sel:DWORD
	s_waitcnt lgkmcnt(6)
	v_lshrrev_b32_e32 v90, 16, v74
	v_fma_f16 v106, v13, v72, v106
	v_mul_f16_sdwa v72, v13, v72 dst_sel:DWORD dst_unused:UNUSED_PAD src0_sel:WORD_1 src1_sel:DWORD
	v_fma_f16 v72, v13, v89, -v72
	v_mul_f16_sdwa v89, v14, v90 dst_sel:DWORD dst_unused:UNUSED_PAD src0_sel:WORD_1 src1_sel:DWORD
	v_lshrrev_b32_e32 v92, 16, v73
	v_fma_f16 v89, v14, v74, v89
	v_mul_f16_sdwa v74, v14, v74 dst_sel:DWORD dst_unused:UNUSED_PAD src0_sel:WORD_1 src1_sel:DWORD
	v_fma_f16 v74, v14, v90, -v74
	v_mul_f16_sdwa v90, v125, v92 dst_sel:DWORD dst_unused:UNUSED_PAD src0_sel:WORD_1 src1_sel:DWORD
	;; [unrolled: 5-line block ×3, first 2 shown]
	s_waitcnt lgkmcnt(4)
	v_lshrrev_b32_e32 v95, 16, v78
	v_fma_f16 v92, v134, v75, v92
	v_mul_f16_sdwa v75, v120, v75 dst_sel:DWORD dst_unused:UNUSED_PAD src0_sel:WORD_1 src1_sel:DWORD
	v_fma_f16 v75, v134, v93, -v75
	v_mul_f16_sdwa v93, v13, v95 dst_sel:DWORD dst_unused:UNUSED_PAD src0_sel:WORD_1 src1_sel:DWORD
	s_waitcnt lgkmcnt(3)
	v_lshrrev_b32_e32 v96, 16, v80
	v_fma_f16 v93, v13, v78, v93
	v_mul_f16_sdwa v78, v13, v78 dst_sel:DWORD dst_unused:UNUSED_PAD src0_sel:WORD_1 src1_sel:DWORD
	v_fma_f16 v78, v13, v95, -v78
	v_mul_f16_sdwa v95, v14, v96 dst_sel:DWORD dst_unused:UNUSED_PAD src0_sel:WORD_1 src1_sel:DWORD
	v_lshrrev_b32_e32 v98, 16, v79
	v_fma_f16 v95, v14, v80, v95
	v_mul_f16_sdwa v80, v14, v80 dst_sel:DWORD dst_unused:UNUSED_PAD src0_sel:WORD_1 src1_sel:DWORD
	v_fma_f16 v80, v14, v96, -v80
	v_mul_f16_e32 v96, v128, v98
	v_lshrrev_b32_e32 v99, 16, v81
	v_fma_f16 v96, v126, v79, v96
	v_mul_f16_e32 v79, v128, v79
	v_fma_f16 v79, v126, v98, -v79
	v_mul_f16_e32 v98, v132, v99
	s_waitcnt lgkmcnt(1)
	v_lshrrev_b32_e32 v101, 16, v84
	v_fma_f16 v98, v131, v81, v98
	v_mul_f16_e32 v81, v132, v81
	v_fma_f16 v81, v131, v99, -v81
	v_mul_f16_sdwa v99, v13, v101 dst_sel:DWORD dst_unused:UNUSED_PAD src0_sel:WORD_1 src1_sel:DWORD
	s_waitcnt lgkmcnt(0)
	v_lshrrev_b32_e32 v102, 16, v86
	v_fma_f16 v99, v13, v84, v99
	v_mul_f16_sdwa v84, v13, v84 dst_sel:DWORD dst_unused:UNUSED_PAD src0_sel:WORD_1 src1_sel:DWORD
	v_fma_f16 v13, v13, v101, -v84
	v_mul_f16_sdwa v84, v14, v102 dst_sel:DWORD dst_unused:UNUSED_PAD src0_sel:WORD_1 src1_sel:DWORD
	v_lshrrev_b32_e32 v104, 16, v85
	v_fma_f16 v84, v14, v86, v84
	v_mul_f16_sdwa v86, v14, v86 dst_sel:DWORD dst_unused:UNUSED_PAD src0_sel:WORD_1 src1_sel:DWORD
	v_fma_f16 v14, v14, v102, -v86
	v_mul_f16_e32 v86, v122, v104
	v_lshrrev_b32_e32 v105, 16, v87
	v_fma_f16 v86, v125, v85, v86
	v_mul_f16_e32 v85, v122, v85
	v_fma_f16 v85, v125, v104, -v85
	v_mul_f16_e32 v101, v121, v105
	v_add_f16_e32 v104, v106, v89
	v_fma_f16 v101, v120, v87, v101
	v_mul_f16_e32 v87, v121, v87
	v_add_f16_e32 v102, v70, v106
	v_fma_f16 v70, v104, -0.5, v70
	v_sub_f16_e32 v104, v72, v74
	v_fma_f16 v87, v120, v105, -v87
	v_fma_f16 v105, v104, s0, v70
	v_fma_f16 v70, v104, s1, v70
	v_add_f16_e32 v104, v88, v72
	v_add_f16_e32 v72, v72, v74
	;; [unrolled: 1-line block ×4, first 2 shown]
	v_fma_f16 v72, v72, -0.5, v88
	v_sub_f16_e32 v74, v106, v89
	v_add_f16_e32 v89, v90, v92
	v_lshrrev_b32_e32 v91, 16, v71
	v_fma_f16 v88, v74, s1, v72
	v_fma_f16 v72, v74, s0, v72
	v_add_f16_e32 v74, v71, v90
	v_fma_f16 v71, v89, -0.5, v71
	v_sub_f16_e32 v89, v73, v75
	v_fma_f16 v106, v89, s0, v71
	v_fma_f16 v71, v89, s1, v71
	v_add_f16_e32 v89, v91, v73
	v_add_f16_e32 v73, v73, v75
	v_add_f16_e32 v89, v89, v75
	v_fma_f16 v73, v73, -0.5, v91
	v_sub_f16_e32 v75, v90, v92
	v_add_f16_e32 v91, v93, v95
	v_lshrrev_b32_e32 v94, 16, v76
	v_fma_f16 v90, v75, s1, v73
	v_fma_f16 v73, v75, s0, v73
	v_add_f16_e32 v75, v76, v93
	v_fma_f16 v76, v91, -0.5, v76
	v_sub_f16_e32 v91, v78, v80
	v_add_f16_e32 v74, v74, v92
	v_fma_f16 v92, v91, s0, v76
	v_fma_f16 v76, v91, s1, v76
	v_add_f16_e32 v91, v94, v78
	v_add_f16_e32 v78, v78, v80
	v_add_f16_e32 v91, v91, v80
	v_fma_f16 v78, v78, -0.5, v94
	v_sub_f16_e32 v80, v93, v95
	v_add_f16_e32 v94, v96, v98
	v_lshrrev_b32_e32 v97, 16, v77
	v_fma_f16 v93, v80, s1, v78
	v_fma_f16 v78, v80, s0, v78
	v_add_f16_e32 v80, v77, v96
	v_fma_f16 v77, v94, -0.5, v77
	v_sub_f16_e32 v94, v79, v81
	v_add_f16_e32 v75, v75, v95
	;; [unrolled: 15-line block ×3, first 2 shown]
	v_fma_f16 v98, v97, s0, v82
	v_fma_f16 v82, v97, s1, v82
	v_add_f16_e32 v97, v100, v13
	v_add_f16_e32 v13, v13, v14
	;; [unrolled: 1-line block ×3, first 2 shown]
	v_fma_f16 v13, v13, -0.5, v100
	v_sub_f16_e32 v14, v99, v84
	v_add_f16_e32 v99, v86, v101
	v_lshrrev_b32_e32 v103, 16, v83
	v_add_f16_e32 v81, v81, v84
	v_fma_f16 v84, v14, s1, v13
	v_fma_f16 v13, v14, s0, v13
	v_add_f16_e32 v14, v83, v86
	v_fma_f16 v83, v99, -0.5, v83
	v_sub_f16_e32 v99, v85, v87
	v_fma_f16 v100, v99, s0, v83
	v_fma_f16 v83, v99, s1, v83
	v_add_f16_e32 v99, v103, v85
	v_add_f16_e32 v85, v85, v87
	v_fma_f16 v85, v85, -0.5, v103
	v_sub_f16_e32 v86, v86, v101
	v_pack_b32_f16 v70, v70, v72
	v_add_f16_e32 v99, v99, v87
	v_fma_f16 v87, v86, s1, v85
	v_fma_f16 v85, v86, s0, v85
	s_barrier
	v_pack_b32_f16 v86, v102, v104
	v_pack_b32_f16 v88, v105, v88
	ds_write_b32 v123, v70 offset:256
	v_pack_b32_f16 v70, v74, v89
	v_pack_b32_f16 v72, v106, v90
	ds_write2_b32 v123, v86, v88 offset1:32
	ds_write2_b32 v124, v70, v72 offset1:32
	v_pack_b32_f16 v70, v71, v73
	ds_write_b32 v124, v70 offset:256
	v_pack_b32_f16 v70, v75, v91
	v_pack_b32_f16 v71, v92, v93
	ds_write2_b32 v127, v70, v71 offset1:32
	v_pack_b32_f16 v70, v76, v78
	ds_write_b32 v127, v70 offset:256
	v_pack_b32_f16 v70, v80, v94
	v_pack_b32_f16 v71, v95, v96
	v_add_f16_e32 v14, v14, v101
	ds_write2_b32 v130, v70, v71 offset1:32
	v_pack_b32_f16 v70, v77, v79
	v_pack_b32_f16 v13, v82, v13
	ds_write_b32 v130, v70 offset:256
	v_pack_b32_f16 v70, v81, v97
	v_pack_b32_f16 v71, v98, v84
	ds_write_b32 v133, v13 offset:256
	v_pack_b32_f16 v13, v14, v99
	v_pack_b32_f16 v14, v100, v87
	ds_write2_b32 v133, v70, v71 offset1:32
	ds_write2_b32 v135, v13, v14 offset1:32
	v_pack_b32_f16 v13, v83, v85
	ds_write_b32 v135, v13 offset:256
	s_waitcnt lgkmcnt(0)
	s_barrier
	ds_read2_b32 v[13:14], v48 offset1:112
	ds_read2_b32 v[69:70], v69 offset0:32 offset1:144
	ds_read2_b32 v[71:72], v43 offset0:64 offset1:176
	;; [unrolled: 1-line block ×7, first 2 shown]
	ds_read2_b32 v[79:80], v46 offset1:112
	s_waitcnt lgkmcnt(8)
	v_lshrrev_b32_e32 v81, 16, v13
	s_waitcnt lgkmcnt(7)
	v_lshrrev_b32_e32 v82, 16, v69
	v_mul_f16_sdwa v98, v17, v82 dst_sel:DWORD dst_unused:UNUSED_PAD src0_sel:WORD_1 src1_sel:DWORD
	s_waitcnt lgkmcnt(6)
	v_lshrrev_b32_e32 v83, 16, v71
	v_fma_f16 v98, v17, v69, v98
	v_mul_f16_sdwa v69, v17, v69 dst_sel:DWORD dst_unused:UNUSED_PAD src0_sel:WORD_1 src1_sel:DWORD
	v_fma_f16 v17, v17, v82, -v69
	v_mul_f16_sdwa v69, v18, v83 dst_sel:DWORD dst_unused:UNUSED_PAD src0_sel:WORD_1 src1_sel:DWORD
	v_lshrrev_b32_e32 v85, 16, v70
	v_fma_f16 v69, v18, v71, v69
	v_mul_f16_sdwa v71, v18, v71 dst_sel:DWORD dst_unused:UNUSED_PAD src0_sel:WORD_1 src1_sel:DWORD
	v_fma_f16 v18, v18, v83, -v71
	v_mul_f16_sdwa v71, v21, v85 dst_sel:DWORD dst_unused:UNUSED_PAD src0_sel:WORD_1 src1_sel:DWORD
	v_lshrrev_b32_e32 v86, 16, v72
	v_fma_f16 v71, v21, v70, v71
	v_mul_f16_sdwa v70, v21, v70 dst_sel:DWORD dst_unused:UNUSED_PAD src0_sel:WORD_1 src1_sel:DWORD
	v_fma_f16 v21, v21, v85, -v70
	v_mul_f16_sdwa v70, v22, v86 dst_sel:DWORD dst_unused:UNUSED_PAD src0_sel:WORD_1 src1_sel:DWORD
	s_waitcnt lgkmcnt(4)
	v_lshrrev_b32_e32 v88, 16, v73
	v_fma_f16 v70, v22, v72, v70
	v_mul_f16_sdwa v72, v22, v72 dst_sel:DWORD dst_unused:UNUSED_PAD src0_sel:WORD_1 src1_sel:DWORD
	v_fma_f16 v22, v22, v86, -v72
	v_mul_f16_sdwa v72, v23, v88 dst_sel:DWORD dst_unused:UNUSED_PAD src0_sel:WORD_1 src1_sel:DWORD
	s_waitcnt lgkmcnt(3)
	v_lshrrev_b32_e32 v89, 16, v75
	v_fma_f16 v72, v23, v73, v72
	v_mul_f16_sdwa v73, v23, v73 dst_sel:DWORD dst_unused:UNUSED_PAD src0_sel:WORD_1 src1_sel:DWORD
	v_fma_f16 v23, v23, v88, -v73
	v_mul_f16_sdwa v73, v24, v89 dst_sel:DWORD dst_unused:UNUSED_PAD src0_sel:WORD_1 src1_sel:DWORD
	v_lshrrev_b32_e32 v46, 16, v74
	v_fma_f16 v73, v24, v75, v73
	v_mul_f16_sdwa v75, v24, v75 dst_sel:DWORD dst_unused:UNUSED_PAD src0_sel:WORD_1 src1_sel:DWORD
	v_fma_f16 v24, v24, v89, -v75
	v_mul_f16_sdwa v75, v19, v46 dst_sel:DWORD dst_unused:UNUSED_PAD src0_sel:WORD_1 src1_sel:DWORD
	v_lshrrev_b32_e32 v91, 16, v76
	v_fma_f16 v75, v19, v74, v75
	v_mul_f16_sdwa v74, v19, v74 dst_sel:DWORD dst_unused:UNUSED_PAD src0_sel:WORD_1 src1_sel:DWORD
	s_waitcnt lgkmcnt(1)
	v_lshrrev_b32_e32 v93, 16, v44
	v_fma_f16 v19, v19, v46, -v74
	v_mul_f16_sdwa v46, v20, v91 dst_sel:DWORD dst_unused:UNUSED_PAD src0_sel:WORD_1 src1_sel:DWORD
	v_mul_f16_sdwa v74, v20, v76 dst_sel:DWORD dst_unused:UNUSED_PAD src0_sel:WORD_1 src1_sel:DWORD
	v_fma_f16 v46, v20, v76, v46
	v_fma_f16 v20, v20, v91, -v74
	v_mul_f16_sdwa v74, v27, v93 dst_sel:DWORD dst_unused:UNUSED_PAD src0_sel:WORD_1 src1_sel:DWORD
	s_waitcnt lgkmcnt(0)
	v_lshrrev_b32_e32 v94, 16, v79
	v_fma_f16 v74, v27, v44, v74
	v_mul_f16_sdwa v44, v27, v44 dst_sel:DWORD dst_unused:UNUSED_PAD src0_sel:WORD_1 src1_sel:DWORD
	v_lshrrev_b32_e32 v96, 16, v45
	v_fma_f16 v27, v27, v93, -v44
	v_mul_f16_sdwa v44, v28, v94 dst_sel:DWORD dst_unused:UNUSED_PAD src0_sel:WORD_1 src1_sel:DWORD
	v_mul_f16_sdwa v76, v28, v79 dst_sel:DWORD dst_unused:UNUSED_PAD src0_sel:WORD_1 src1_sel:DWORD
	v_fma_f16 v44, v28, v79, v44
	v_fma_f16 v28, v28, v94, -v76
	v_mul_f16_sdwa v76, v25, v96 dst_sel:DWORD dst_unused:UNUSED_PAD src0_sel:WORD_1 src1_sel:DWORD
	v_lshrrev_b32_e32 v97, 16, v80
	v_fma_f16 v76, v25, v45, v76
	v_mul_f16_sdwa v45, v25, v45 dst_sel:DWORD dst_unused:UNUSED_PAD src0_sel:WORD_1 src1_sel:DWORD
	v_fma_f16 v25, v25, v96, -v45
	v_mul_f16_sdwa v45, v26, v97 dst_sel:DWORD dst_unused:UNUSED_PAD src0_sel:WORD_1 src1_sel:DWORD
	v_fma_f16 v79, v26, v80, v45
	v_mul_f16_sdwa v45, v26, v80 dst_sel:DWORD dst_unused:UNUSED_PAD src0_sel:WORD_1 src1_sel:DWORD
	v_fma_f16 v26, v26, v97, -v45
	v_add_f16_e32 v45, v13, v98
	v_add_f16_e32 v80, v45, v69
	;; [unrolled: 1-line block ×3, first 2 shown]
	v_fma_f16 v13, v45, -0.5, v13
	v_sub_f16_e32 v45, v17, v18
	v_fma_f16 v82, v45, s0, v13
	v_fma_f16 v13, v45, s1, v13
	v_add_f16_e32 v45, v81, v17
	v_add_f16_e32 v17, v17, v18
	v_add_f16_e32 v83, v45, v18
	v_fma_f16 v17, v17, -0.5, v81
	v_sub_f16_e32 v18, v98, v69
	v_add_f16_e32 v45, v71, v70
	v_lshrrev_b32_e32 v84, 16, v14
	v_fma_f16 v81, v18, s1, v17
	v_fma_f16 v17, v18, s0, v17
	v_add_f16_e32 v18, v14, v71
	v_fma_f16 v14, v45, -0.5, v14
	v_sub_f16_e32 v45, v21, v22
	v_fma_f16 v85, v45, s0, v14
	v_fma_f16 v14, v45, s1, v14
	v_add_f16_e32 v45, v84, v21
	v_add_f16_e32 v21, v21, v22
	v_add_f16_e32 v86, v45, v22
	v_fma_f16 v21, v21, -0.5, v84
	v_sub_f16_e32 v22, v71, v70
	v_add_f16_e32 v45, v72, v73
	v_lshrrev_b32_e32 v87, 16, v42
	v_fma_f16 v84, v22, s1, v21
	v_fma_f16 v21, v22, s0, v21
	v_add_f16_e32 v22, v42, v72
	;; [unrolled: 14-line block ×3, first 2 shown]
	v_fma_f16 v42, v42, -0.5, v43
	v_sub_f16_e32 v43, v19, v20
	v_add_f16_e32 v22, v22, v73
	v_fma_f16 v73, v43, s0, v42
	v_fma_f16 v87, v43, s1, v42
	v_add_f16_e32 v42, v90, v19
	v_add_f16_e32 v93, v42, v20
	;; [unrolled: 1-line block ×4, first 2 shown]
	v_lshrrev_b32_e32 v92, 16, v77
	v_fma_f16 v19, v19, -0.5, v90
	v_sub_f16_e32 v20, v75, v46
	v_fma_f16 v42, v42, -0.5, v77
	v_sub_f16_e32 v43, v27, v28
	v_fma_f16 v75, v20, s1, v19
	v_fma_f16 v19, v20, s0, v19
	v_add_f16_e32 v20, v77, v74
	v_fma_f16 v77, v43, s0, v42
	v_fma_f16 v42, v43, s1, v42
	v_add_f16_e32 v43, v92, v27
	v_add_f16_e32 v27, v27, v28
	;; [unrolled: 1-line block ×3, first 2 shown]
	v_fma_f16 v27, v27, -0.5, v92
	v_sub_f16_e32 v28, v74, v44
	v_add_f16_e32 v20, v20, v44
	v_fma_f16 v74, v28, s1, v27
	v_fma_f16 v44, v28, s0, v27
	v_add_f16_e32 v27, v78, v76
	v_add_f16_e32 v45, v27, v79
	;; [unrolled: 1-line block ×3, first 2 shown]
	v_lshrrev_b32_e32 v95, 16, v78
	v_fma_f16 v27, v27, -0.5, v78
	v_sub_f16_e32 v28, v25, v26
	v_add_f16_e32 v24, v24, v46
	v_fma_f16 v43, v28, s0, v27
	v_fma_f16 v46, v28, s1, v27
	v_add_f16_e32 v27, v95, v25
	v_add_f16_e32 v25, v25, v26
	;; [unrolled: 1-line block ×4, first 2 shown]
	v_fma_f16 v25, v25, -0.5, v95
	v_sub_f16_e32 v26, v76, v79
	v_pack_b32_f16 v13, v13, v17
	v_fma_f16 v69, v26, s1, v25
	v_fma_f16 v71, v26, s0, v25
	s_barrier
	v_pack_b32_f16 v25, v80, v83
	v_pack_b32_f16 v26, v82, v81
	ds_write_b32 v136, v13 offset:768
	v_pack_b32_f16 v13, v18, v86
	v_pack_b32_f16 v17, v85, v84
	ds_write2_b32 v136, v25, v26 offset1:96
	ds_write2_b32 v137, v13, v17 offset1:96
	v_pack_b32_f16 v13, v14, v21
	ds_write_b32 v137, v13 offset:768
	v_pack_b32_f16 v13, v22, v91
	v_pack_b32_f16 v14, v88, v72
	ds_write2_b32 v138, v13, v14 offset1:96
	v_pack_b32_f16 v13, v89, v23
	ds_write_b32 v138, v13 offset:768
	v_pack_b32_f16 v13, v24, v93
	v_pack_b32_f16 v14, v73, v75
	;; [unrolled: 5-line block ×4, first 2 shown]
	ds_write2_b32 v141, v13, v14 offset1:96
	v_pack_b32_f16 v13, v46, v71
	v_add_u32_e32 v17, 0x400, v48
	ds_write_b32 v141, v13 offset:768
	s_waitcnt lgkmcnt(0)
	s_barrier
	ds_read2_b32 v[25:26], v17 offset0:32 offset1:144
	v_add_u32_e32 v17, 0x800, v48
	ds_read2_b32 v[13:14], v48 offset1:112
	ds_read2_b32 v[27:28], v17 offset0:64 offset1:176
	ds_read2_b32 v[23:24], v41 offset0:96 offset1:208
	;; [unrolled: 1-line block ×3, first 2 shown]
	v_add_u32_e32 v19, 0x1600, v48
	v_add_u32_e32 v21, 0x1a00, v48
	ds_read2_b32 v[19:20], v19 offset0:32 offset1:144
	ds_read2_b32 v[21:22], v21 offset0:64 offset1:176
	s_and_saveexec_b64 s[0:1], vcc
	s_cbranch_execz .LBB0_7
; %bb.6:
	ds_read_b32 v42, v48 offset:896
	ds_read_b32 v45, v48 offset:2048
	;; [unrolled: 1-line block ×7, first 2 shown]
	s_waitcnt lgkmcnt(6)
	v_lshrrev_b32_e32 v44, 16, v42
	s_waitcnt lgkmcnt(5)
	v_lshrrev_b32_e32 v70, 16, v45
	;; [unrolled: 2-line block ×7, first 2 shown]
.LBB0_7:
	s_or_b64 exec, exec, s[0:1]
	s_waitcnt lgkmcnt(6)
	v_lshrrev_b32_e32 v40, 16, v25
	v_mul_f16_sdwa v82, v4, v40 dst_sel:DWORD dst_unused:UNUSED_PAD src0_sel:WORD_1 src1_sel:DWORD
	s_waitcnt lgkmcnt(4)
	v_lshrrev_b32_e32 v41, 16, v27
	v_fma_f16 v82, v4, v25, v82
	v_mul_f16_sdwa v25, v4, v25 dst_sel:DWORD dst_unused:UNUSED_PAD src0_sel:WORD_1 src1_sel:DWORD
	v_fma_f16 v4, v4, v40, -v25
	v_mul_f16_sdwa v25, v5, v41 dst_sel:DWORD dst_unused:UNUSED_PAD src0_sel:WORD_1 src1_sel:DWORD
	s_waitcnt lgkmcnt(3)
	v_lshrrev_b32_e32 v72, 16, v23
	v_fma_f16 v25, v5, v27, v25
	v_mul_f16_sdwa v27, v5, v27 dst_sel:DWORD dst_unused:UNUSED_PAD src0_sel:WORD_1 src1_sel:DWORD
	v_fma_f16 v5, v5, v41, -v27
	;; [unrolled: 6-line block ×5, first 2 shown]
	v_mul_f16_sdwa v29, v30, v75 dst_sel:DWORD dst_unused:UNUSED_PAD src0_sel:WORD_1 src1_sel:DWORD
	v_lshrrev_b32_e32 v76, 16, v26
	v_fma_f16 v29, v30, v21, v29
	v_mul_f16_sdwa v21, v30, v21 dst_sel:DWORD dst_unused:UNUSED_PAD src0_sel:WORD_1 src1_sel:DWORD
	v_fma_f16 v21, v30, v75, -v21
	v_mul_f16_sdwa v30, v8, v76 dst_sel:DWORD dst_unused:UNUSED_PAD src0_sel:WORD_1 src1_sel:DWORD
	v_lshrrev_b32_e32 v77, 16, v28
	v_fma_f16 v30, v8, v26, v30
	v_mul_f16_sdwa v26, v8, v26 dst_sel:DWORD dst_unused:UNUSED_PAD src0_sel:WORD_1 src1_sel:DWORD
	v_fma_f16 v8, v8, v76, -v26
	;; [unrolled: 5-line block ×6, first 2 shown]
	v_mul_f16_sdwa v31, v32, v81 dst_sel:DWORD dst_unused:UNUSED_PAD src0_sel:WORD_1 src1_sel:DWORD
	v_fma_f16 v31, v32, v22, v31
	v_mul_f16_sdwa v22, v32, v22 dst_sel:DWORD dst_unused:UNUSED_PAD src0_sel:WORD_1 src1_sel:DWORD
	v_fma_f16 v22, v32, v81, -v22
	v_add_f16_e32 v32, v82, v29
	v_add_f16_e32 v40, v4, v21
	v_sub_f16_e32 v4, v4, v21
	v_add_f16_e32 v21, v25, v17
	v_add_f16_e32 v41, v5, v19
	v_sub_f16_e32 v29, v82, v29
	v_sub_f16_e32 v17, v25, v17
	;; [unrolled: 1-line block ×3, first 2 shown]
	v_add_f16_e32 v19, v27, v23
	v_add_f16_e32 v25, v6, v7
	v_sub_f16_e32 v23, v23, v27
	v_sub_f16_e32 v6, v7, v6
	v_add_f16_e32 v7, v21, v32
	v_add_f16_e32 v27, v41, v40
	v_sub_f16_e32 v72, v21, v32
	v_sub_f16_e32 v73, v41, v40
	;; [unrolled: 1-line block ×6, first 2 shown]
	v_add_f16_e32 v74, v23, v17
	v_add_f16_e32 v75, v6, v5
	v_sub_f16_e32 v76, v23, v17
	v_sub_f16_e32 v77, v6, v5
	;; [unrolled: 1-line block ×4, first 2 shown]
	v_add_f16_e32 v7, v19, v7
	v_add_f16_e32 v19, v25, v27
	v_sub_f16_e32 v23, v29, v23
	v_sub_f16_e32 v6, v4, v6
	v_add_f16_e32 v25, v74, v29
	v_add_f16_e32 v4, v75, v4
	v_add_f16_e32 v27, v13, v7
	v_add_f16_sdwa v13, v13, v19 dst_sel:DWORD dst_unused:UNUSED_PAD src0_sel:WORD_1 src1_sel:DWORD
	v_mul_f16_e32 v29, 0x3a52, v32
	v_mul_f16_e32 v32, 0x3a52, v40
	s_movk_i32 s13, 0x2b26
	v_mul_f16_e32 v40, 0x2b26, v21
	v_mul_f16_e32 v74, 0x2b26, v41
	;; [unrolled: 1-line block ×4, first 2 shown]
	s_mov_b32 s4, 0xbb00
	v_mul_f16_e32 v77, 0xbb00, v17
	v_mul_f16_e32 v78, 0xbb00, v5
	s_mov_b32 s14, 0xbcab
	s_movk_i32 s5, 0x39e0
	s_mov_b32 s6, 0xb9e0
	s_mov_b32 s15, 0xb574
	v_fma_f16 v7, v7, s14, v27
	v_fma_f16 v19, v19, s14, v13
	;; [unrolled: 1-line block ×4, first 2 shown]
	v_fma_f16 v40, v72, s5, -v40
	v_fma_f16 v74, v73, s5, -v74
	;; [unrolled: 1-line block ×4, first 2 shown]
	v_fma_f16 v72, v23, s15, v75
	v_fma_f16 v73, v6, s15, v76
	v_fma_f16 v5, v5, s4, -v76
	v_fma_f16 v23, v23, s7, -v77
	;; [unrolled: 1-line block ×3, first 2 shown]
	s_mov_b32 s12, 0xb70e
	v_fma_f16 v17, v17, s4, -v75
	v_add_f16_e32 v21, v21, v7
	v_add_f16_e32 v41, v41, v19
	;; [unrolled: 1-line block ×6, first 2 shown]
	v_fma_f16 v29, v25, s12, v72
	v_fma_f16 v32, v4, s12, v73
	v_fma_f16 v5, v4, s12, v5
	v_fma_f16 v23, v25, s12, v23
	v_fma_f16 v4, v4, s12, v6
	v_fma_f16 v17, v25, s12, v17
	v_add_f16_e32 v6, v32, v21
	v_sub_f16_e32 v25, v41, v29
	v_add_f16_e32 v72, v4, v7
	v_sub_f16_e32 v73, v19, v23
	v_sub_f16_e32 v4, v7, v4
	v_add_f16_e32 v7, v23, v19
	v_sub_f16_e32 v19, v21, v32
	v_add_f16_e32 v21, v29, v41
	v_add_f16_e32 v23, v30, v31
	;; [unrolled: 1-line block ×3, first 2 shown]
	v_sub_f16_e32 v30, v30, v31
	v_sub_f16_e32 v8, v8, v22
	v_add_f16_e32 v22, v26, v18
	v_add_f16_e32 v31, v9, v20
	v_sub_f16_e32 v18, v26, v18
	v_sub_f16_e32 v9, v9, v20
	v_add_f16_e32 v20, v28, v24
	v_add_f16_e32 v26, v10, v11
	;; [unrolled: 4-line block ×3, first 2 shown]
	v_sub_f16_e32 v75, v40, v5
	v_add_f16_e32 v76, v17, v74
	v_add_f16_e32 v5, v5, v40
	v_sub_f16_e32 v17, v74, v17
	v_sub_f16_e32 v32, v22, v23
	v_sub_f16_e32 v40, v31, v29
	v_sub_f16_e32 v23, v23, v20
	v_sub_f16_e32 v29, v29, v26
	v_sub_f16_e32 v22, v20, v22
	v_sub_f16_e32 v31, v26, v31
	v_add_f16_e32 v41, v24, v18
	v_add_f16_e32 v74, v10, v9
	v_sub_f16_e32 v77, v24, v18
	v_sub_f16_e32 v78, v10, v9
	v_add_f16_e32 v11, v20, v11
	v_add_f16_e32 v20, v26, v28
	v_sub_f16_e32 v24, v30, v24
	v_sub_f16_e32 v10, v8, v10
	;; [unrolled: 1-line block ×4, first 2 shown]
	v_add_f16_e32 v26, v41, v30
	v_add_f16_e32 v8, v74, v8
	;; [unrolled: 1-line block ×3, first 2 shown]
	v_add_f16_sdwa v14, v14, v20 dst_sel:DWORD dst_unused:UNUSED_PAD src0_sel:WORD_1 src1_sel:DWORD
	v_mul_f16_e32 v23, 0x3a52, v23
	v_mul_f16_e32 v29, 0x3a52, v29
	;; [unrolled: 1-line block ×8, first 2 shown]
	v_fma_f16 v11, v11, s14, v28
	v_fma_f16 v20, v20, s14, v14
	;; [unrolled: 1-line block ×4, first 2 shown]
	v_fma_f16 v30, v32, s5, -v30
	v_fma_f16 v41, v40, s5, -v41
	;; [unrolled: 1-line block ×4, first 2 shown]
	v_fma_f16 v32, v24, s15, v74
	v_fma_f16 v40, v10, s15, v77
	v_pack_b32_f16 v13, v27, v13
	v_pack_b32_f16 v6, v6, v25
	;; [unrolled: 1-line block ×3, first 2 shown]
	v_fma_f16 v18, v18, s4, -v74
	v_fma_f16 v9, v9, s4, -v77
	;; [unrolled: 1-line block ×4, first 2 shown]
	v_add_f16_e32 v22, v22, v11
	v_add_f16_e32 v31, v31, v20
	;; [unrolled: 1-line block ×6, first 2 shown]
	v_fma_f16 v23, v26, s12, v32
	v_fma_f16 v29, v8, s12, v40
	ds_write_b32 v48, v13
	ds_write_b32 v33, v6 offset:1152
	v_pack_b32_f16 v6, v72, v73
	ds_write_b32 v33, v4 offset:5760
	v_pack_b32_f16 v4, v19, v21
	v_fma_f16 v18, v26, s12, v18
	v_fma_f16 v9, v8, s12, v9
	v_fma_f16 v24, v26, s12, v24
	v_fma_f16 v8, v8, s12, v10
	v_add_f16_e32 v10, v29, v22
	v_sub_f16_e32 v26, v31, v23
	ds_write_b32 v33, v6 offset:2304
	v_pack_b32_f16 v6, v75, v76
	v_pack_b32_f16 v5, v5, v17
	ds_write_b32 v33, v4 offset:6912
	v_pack_b32_f16 v4, v28, v14
	v_add_f16_e32 v32, v8, v11
	v_sub_f16_e32 v40, v20, v24
	ds_write_b32 v33, v6 offset:3456
	ds_write_b32 v33, v5 offset:4608
	;; [unrolled: 1-line block ×3, first 2 shown]
	v_pack_b32_f16 v4, v10, v26
	v_sub_f16_e32 v74, v30, v9
	v_add_f16_e32 v77, v18, v41
	ds_write_b32 v33, v4 offset:1600
	v_pack_b32_f16 v4, v32, v40
	v_add_f16_e32 v9, v9, v30
	v_sub_f16_e32 v18, v41, v18
	ds_write_b32 v33, v4 offset:2752
	v_pack_b32_f16 v4, v74, v77
	v_sub_f16_e32 v8, v11, v8
	v_add_f16_e32 v11, v24, v20
	ds_write_b32 v33, v4 offset:3904
	v_pack_b32_f16 v4, v9, v18
	v_sub_f16_e32 v20, v22, v29
	v_add_f16_e32 v22, v23, v31
	ds_write_b32 v33, v4 offset:5056
	v_pack_b32_f16 v4, v8, v11
	ds_write_b32 v33, v4 offset:6208
	v_pack_b32_f16 v4, v20, v22
	ds_write_b32 v33, v4 offset:7360
	s_and_saveexec_b64 s[0:1], vcc
	s_cbranch_execz .LBB0_9
; %bb.8:
	v_mul_f16_sdwa v5, v16, v39 dst_sel:DWORD dst_unused:UNUSED_PAD src0_sel:WORD_1 src1_sel:DWORD
	v_mul_f16_sdwa v8, v2, v71 dst_sel:DWORD dst_unused:UNUSED_PAD src0_sel:WORD_1 src1_sel:DWORD
	;; [unrolled: 1-line block ×7, first 2 shown]
	v_fma_f16 v5, v16, v38, v5
	v_mul_f16_sdwa v7, v3, v37 dst_sel:DWORD dst_unused:UNUSED_PAD src0_sel:WORD_1 src1_sel:DWORD
	v_fma_f16 v8, v2, v46, v8
	v_mul_f16_sdwa v11, v1, v69 dst_sel:DWORD dst_unused:UNUSED_PAD src0_sel:WORD_1 src1_sel:DWORD
	v_fma_f16 v13, v15, v35, v13
	v_fma_f16 v16, v16, v39, -v19
	v_mul_f16_sdwa v19, v0, v45 dst_sel:DWORD dst_unused:UNUSED_PAD src0_sel:WORD_1 src1_sel:DWORD
	v_fma_f16 v2, v2, v71, -v20
	v_mul_f16_sdwa v20, v3, v34 dst_sel:DWORD dst_unused:UNUSED_PAD src0_sel:WORD_1 src1_sel:DWORD
	v_fma_f16 v15, v15, v36, -v22
	v_mul_f16_sdwa v22, v1, v43 dst_sel:DWORD dst_unused:UNUSED_PAD src0_sel:WORD_1 src1_sel:DWORD
	v_fma_f16 v4, v0, v45, v4
	v_fma_f16 v7, v3, v34, v7
	;; [unrolled: 1-line block ×3, first 2 shown]
	v_fma_f16 v0, v0, v70, -v19
	v_fma_f16 v3, v3, v37, -v20
	;; [unrolled: 1-line block ×3, first 2 shown]
	v_sub_f16_e32 v6, v4, v5
	v_sub_f16_e32 v9, v7, v8
	;; [unrolled: 1-line block ×3, first 2 shown]
	v_add_f16_e32 v19, v16, v0
	v_add_f16_e32 v20, v3, v2
	;; [unrolled: 1-line block ×3, first 2 shown]
	v_sub_f16_e32 v0, v0, v16
	v_sub_f16_e32 v2, v3, v2
	;; [unrolled: 1-line block ×5, first 2 shown]
	v_add_f16_e32 v9, v9, v14
	v_add_f16_e32 v4, v5, v4
	;; [unrolled: 1-line block ×4, first 2 shown]
	v_sub_f16_e32 v3, v0, v2
	v_sub_f16_e32 v15, v2, v1
	v_add_f16_e32 v2, v2, v1
	v_add_f16_e32 v9, v9, v6
	;; [unrolled: 1-line block ×5, first 2 shown]
	v_sub_f16_e32 v6, v14, v6
	v_sub_f16_e32 v0, v1, v0
	v_mul_f16_e32 v17, 0x3846, v17
	v_sub_f16_e32 v21, v19, v20
	v_sub_f16_e32 v23, v20, v22
	v_add_f16_e32 v20, v20, v25
	v_sub_f16_e32 v7, v4, v5
	v_sub_f16_e32 v11, v5, v8
	v_add_f16_e32 v5, v5, v27
	v_mul_f16_e32 v15, 0x3846, v15
	v_mul_f16_e32 v14, 0xbb00, v6
	;; [unrolled: 1-line block ×3, first 2 shown]
	v_fma_f16 v18, v10, s15, v17
	v_mul_f16_e32 v24, 0x2b26, v23
	v_add_f16_e32 v25, v44, v20
	v_mul_f16_e32 v13, 0x2b26, v11
	v_add_f16_e32 v27, v42, v5
	v_fma_f16 v16, v3, s15, v15
	v_fma_f16 v10, v10, s7, -v14
	v_sub_f16_e32 v14, v22, v19
	v_sub_f16_e32 v4, v8, v4
	v_fma_f16 v1, v3, s7, -v1
	v_fma_f16 v0, v0, s4, -v15
	v_fma_f16 v20, v20, s14, v25
	v_mul_f16_e32 v7, 0x3a52, v7
	v_fma_f16 v5, v5, s14, v27
	v_fma_f16 v16, v2, s12, v16
	v_fma_f16 v1, v2, s12, v1
	v_fma_f16 v8, v14, s5, -v24
	v_fma_f16 v6, v6, s4, -v17
	v_fma_f16 v0, v2, s12, v0
	v_fma_f16 v2, v4, s5, -v13
	v_mul_f16_e32 v21, 0x3a52, v21
	v_fma_f16 v11, v11, s13, v7
	v_fma_f16 v7, v4, s6, -v7
	v_add_f16_e32 v8, v8, v20
	v_fma_f16 v6, v9, s12, v6
	v_add_f16_e32 v2, v2, v5
	v_add_f16_e32 v11, v11, v5
	v_fma_f16 v19, v14, s6, -v21
	v_add_f16_e32 v7, v7, v5
	v_add_f16_e32 v4, v0, v2
	;; [unrolled: 1-line block ×3, first 2 shown]
	v_sub_f16_e32 v0, v2, v0
	v_fma_f16 v18, v9, s12, v18
	v_fma_f16 v23, v23, s13, v21
	;; [unrolled: 1-line block ×3, first 2 shown]
	v_add_f16_e32 v19, v19, v20
	v_sub_f16_e32 v9, v8, v6
	v_pack_b32_f16 v8, v27, v25
	v_pack_b32_f16 v0, v0, v5
	v_add_f16_e32 v23, v23, v20
	v_add_f16_e32 v21, v10, v19
	v_sub_f16_e32 v3, v7, v1
	ds_write_b32 v48, v8 offset:896
	ds_write_b32 v33, v0 offset:4352
	v_pack_b32_f16 v0, v4, v9
	v_add_f16_e32 v26, v18, v23
	v_sub_f16_e32 v28, v11, v16
	v_sub_f16_e32 v2, v19, v10
	v_add_f16_e32 v1, v1, v7
	v_sub_f16_e32 v6, v23, v18
	v_add_f16_e32 v7, v16, v11
	ds_write_b32 v33, v0 offset:5504
	v_pack_b32_f16 v0, v3, v21
	v_pack_b32_f16 v6, v7, v6
	;; [unrolled: 1-line block ×3, first 2 shown]
	ds_write_b32 v33, v0 offset:6656
	v_pack_b32_f16 v0, v28, v26
	ds_write_b32 v33, v6 offset:2048
	ds_write_b32 v33, v1 offset:3200
	;; [unrolled: 1-line block ×3, first 2 shown]
.LBB0_9:
	s_or_b64 exec, exec, s[0:1]
	s_waitcnt lgkmcnt(0)
	s_barrier
	ds_read2_b32 v[4:5], v48 offset1:112
	s_mov_b32 s4, 0x10410410
	s_mov_b32 s5, 0x3f404104
	v_mad_u64_u32 v[6:7], s[0:1], s10, v12, 0
	s_waitcnt lgkmcnt(0)
	v_lshrrev_b32_e32 v8, 16, v4
	v_mul_f16_sdwa v0, v68, v8 dst_sel:DWORD dst_unused:UNUSED_PAD src0_sel:WORD_1 src1_sel:DWORD
	v_fma_f16 v0, v68, v4, v0
	v_cvt_f32_f16_e32 v0, v0
	v_mov_b32_e32 v2, v7
	v_mad_u64_u32 v[2:3], s[0:1], s11, v12, v[2:3]
	v_cvt_f64_f32_e32 v[0:1], v0
	s_movk_i32 s6, 0x1ff
	s_movk_i32 s7, 0xffe
	v_mov_b32_e32 v7, v2
	v_mul_f64 v[0:1], v[0:1], s[4:5]
	s_movk_i32 s10, 0x40f
	s_mov_b32 s11, 0x8000
	v_lshlrev_b64 v[6:7], 2, v[6:7]
	v_mov_b32_e32 v14, s3
	s_mul_i32 s3, s8, 0xfc0
	s_mul_i32 s13, s8, 0xfffff200
	v_and_or_b32 v0, v1, s6, v0
	v_cmp_ne_u32_e32 vcc, 0, v0
	v_lshrrev_b32_e32 v2, 8, v1
	v_bfe_u32 v3, v1, 20, 11
	v_cndmask_b32_e64 v0, 0, 1, vcc
	v_and_or_b32 v0, v2, s7, v0
	v_sub_u32_e32 v9, 0x3f1, v3
	v_or_b32_e32 v2, 0x1000, v0
	v_med3_i32 v9, v9, 0, 13
	v_lshrrev_b32_e32 v10, v9, v2
	v_lshlrev_b32_e32 v9, v9, v10
	v_cmp_ne_u32_e32 vcc, v9, v2
	v_cndmask_b32_e64 v2, 0, 1, vcc
	v_add_u32_e32 v9, 0xfffffc10, v3
	v_or_b32_e32 v2, v10, v2
	v_lshl_or_b32 v3, v9, 12, v0
	v_cmp_gt_i32_e32 vcc, 1, v9
	v_cndmask_b32_e32 v2, v3, v2, vcc
	v_and_b32_e32 v3, 7, v2
	v_cmp_lt_i32_e32 vcc, 5, v3
	v_cmp_eq_u32_e64 s[0:1], 3, v3
	v_mul_f16_sdwa v3, v68, v4 dst_sel:DWORD dst_unused:UNUSED_PAD src0_sel:WORD_1 src1_sel:DWORD
	v_fma_f16 v3, v68, v8, -v3
	v_cvt_f32_f16_e32 v3, v3
	v_lshrrev_b32_e32 v2, 2, v2
	s_or_b64 vcc, s[0:1], vcc
	v_addc_co_u32_e32 v8, vcc, 0, v2, vcc
	v_cvt_f64_f32_e32 v[3:4], v3
	v_mov_b32_e32 v2, 0x7c00
	v_cmp_gt_i32_e32 vcc, 31, v9
	v_cndmask_b32_e32 v8, v2, v8, vcc
	v_mul_f64 v[3:4], v[3:4], s[4:5]
	v_cmp_ne_u32_e32 vcc, 0, v0
	v_cndmask_b32_e64 v0, 0, 1, vcc
	v_lshl_or_b32 v0, v0, 9, v2
	v_cmp_eq_u32_e32 vcc, s10, v9
	v_cndmask_b32_e32 v0, v8, v0, vcc
	v_lshrrev_b32_e32 v1, 16, v1
	v_and_or_b32 v10, v1, s11, v0
	v_and_or_b32 v0, v4, s6, v3
	v_cmp_ne_u32_e32 vcc, 0, v0
	v_cndmask_b32_e64 v0, 0, 1, vcc
	v_lshrrev_b32_e32 v1, 8, v4
	v_bfe_u32 v3, v4, 20, 11
	v_and_or_b32 v0, v1, s7, v0
	v_sub_u32_e32 v8, 0x3f1, v3
	v_or_b32_e32 v1, 0x1000, v0
	v_med3_i32 v8, v8, 0, 13
	v_lshrrev_b32_e32 v9, v8, v1
	v_lshlrev_b32_e32 v8, v8, v9
	v_cmp_ne_u32_e32 vcc, v8, v1
	v_cndmask_b32_e64 v1, 0, 1, vcc
	v_add_u32_e32 v3, 0xfffffc10, v3
	v_or_b32_e32 v1, v9, v1
	v_lshl_or_b32 v8, v3, 12, v0
	v_cmp_gt_i32_e32 vcc, 1, v3
	v_cndmask_b32_e32 v1, v8, v1, vcc
	v_and_b32_e32 v8, 7, v1
	v_cmp_lt_i32_e32 vcc, 5, v8
	v_cmp_eq_u32_e64 s[0:1], 3, v8
	v_lshrrev_b32_e32 v1, 2, v1
	s_or_b64 vcc, s[0:1], vcc
	v_addc_co_u32_e32 v1, vcc, 0, v1, vcc
	v_cmp_gt_i32_e32 vcc, 31, v3
	v_cndmask_b32_e32 v1, v2, v1, vcc
	v_cmp_ne_u32_e32 vcc, 0, v0
	v_cndmask_b32_e64 v0, 0, 1, vcc
	v_lshl_or_b32 v0, v0, 9, v2
	v_cmp_eq_u32_e32 vcc, s10, v3
	v_cndmask_b32_e32 v3, v1, v0, vcc
	v_add_u32_e32 v0, 0xc00, v48
	v_mad_u64_u32 v[8:9], s[0:1], s8, v67, 0
	ds_read2_b32 v[0:1], v0 offset0:128 offset1:240
	v_lshrrev_b32_e32 v4, 16, v4
	v_and_or_b32 v11, v4, s11, v3
	v_mov_b32_e32 v3, v9
	v_mad_u64_u32 v[3:4], s[0:1], s9, v67, v[3:4]
	s_waitcnt lgkmcnt(0)
	v_lshrrev_b32_e32 v12, 16, v1
	v_mul_f16_sdwa v4, v66, v12 dst_sel:DWORD dst_unused:UNUSED_PAD src0_sel:WORD_1 src1_sel:DWORD
	v_fma_f16 v4, v66, v1, v4
	v_cvt_f32_f16_e32 v4, v4
	v_mov_b32_e32 v9, v3
	v_and_b32_e32 v10, 0xffff, v10
	v_lshl_or_b32 v13, v11, 16, v10
	v_cvt_f64_f32_e32 v[3:4], v4
	v_mul_f16_sdwa v1, v66, v1 dst_sel:DWORD dst_unused:UNUSED_PAD src0_sel:WORD_1 src1_sel:DWORD
	v_fma_f16 v1, v66, v12, -v1
	v_cvt_f32_f16_e32 v1, v1
	v_mul_f64 v[10:11], v[3:4], s[4:5]
	v_add_co_u32_e32 v3, vcc, s2, v6
	v_addc_co_u32_e32 v4, vcc, v14, v7, vcc
	v_lshlrev_b64 v[6:7], 2, v[8:9]
	s_mul_hi_u32 s2, s8, 0xfc0
	v_add_co_u32_e32 v6, vcc, v3, v6
	v_addc_co_u32_e32 v7, vcc, v4, v7, vcc
	v_and_or_b32 v8, v11, s6, v10
	v_cmp_ne_u32_e32 vcc, 0, v8
	v_cndmask_b32_e64 v8, 0, 1, vcc
	v_lshrrev_b32_e32 v9, 8, v11
	v_and_or_b32 v10, v9, s7, v8
	v_bfe_u32 v9, v11, 20, 11
	global_store_dword v[6:7], v13, off
	v_sub_u32_e32 v13, 0x3f1, v9
	v_or_b32_e32 v8, 0x1000, v10
	v_med3_i32 v13, v13, 0, 13
	v_lshrrev_b32_e32 v14, v13, v8
	v_lshlrev_b32_e32 v13, v13, v14
	v_cmp_ne_u32_e32 vcc, v13, v8
	v_cndmask_b32_e64 v8, 0, 1, vcc
	v_add_u32_e32 v13, 0xfffffc10, v9
	v_or_b32_e32 v8, v14, v8
	v_lshl_or_b32 v9, v13, 12, v10
	v_cmp_gt_i32_e32 vcc, 1, v13
	v_cndmask_b32_e32 v8, v9, v8, vcc
	v_and_b32_e32 v9, 7, v8
	v_cmp_lt_i32_e32 vcc, 5, v9
	v_cmp_eq_u32_e64 s[0:1], 3, v9
	v_lshrrev_b32_e32 v12, 2, v8
	v_cvt_f64_f32_e32 v[8:9], v1
	s_or_b64 vcc, s[0:1], vcc
	v_addc_co_u32_e32 v1, vcc, 0, v12, vcc
	v_mul_f64 v[8:9], v[8:9], s[4:5]
	v_cmp_gt_i32_e32 vcc, 31, v13
	v_cndmask_b32_e32 v1, v2, v1, vcc
	v_cmp_ne_u32_e32 vcc, 0, v10
	v_cndmask_b32_e64 v10, 0, 1, vcc
	v_lshl_or_b32 v10, v10, 9, v2
	v_cmp_eq_u32_e32 vcc, s10, v13
	v_cndmask_b32_e32 v1, v1, v10, vcc
	v_and_or_b32 v8, v9, s6, v8
	v_lshrrev_b32_e32 v10, 16, v11
	v_cmp_ne_u32_e32 vcc, 0, v8
	v_and_or_b32 v1, v10, s11, v1
	v_cndmask_b32_e64 v8, 0, 1, vcc
	v_lshrrev_b32_e32 v10, 8, v9
	v_bfe_u32 v11, v9, 20, 11
	v_and_or_b32 v8, v10, s7, v8
	v_sub_u32_e32 v12, 0x3f1, v11
	v_or_b32_e32 v10, 0x1000, v8
	v_med3_i32 v12, v12, 0, 13
	v_lshrrev_b32_e32 v13, v12, v10
	v_lshlrev_b32_e32 v12, v12, v13
	v_cmp_ne_u32_e32 vcc, v12, v10
	v_cndmask_b32_e64 v10, 0, 1, vcc
	v_add_u32_e32 v11, 0xfffffc10, v11
	v_or_b32_e32 v10, v13, v10
	v_lshl_or_b32 v12, v11, 12, v8
	v_cmp_gt_i32_e32 vcc, 1, v11
	v_cndmask_b32_e32 v10, v12, v10, vcc
	v_and_b32_e32 v12, 7, v10
	v_cmp_lt_i32_e32 vcc, 5, v12
	v_cmp_eq_u32_e64 s[0:1], 3, v12
	v_lshrrev_b32_e32 v10, 2, v10
	s_or_b64 vcc, s[0:1], vcc
	v_addc_co_u32_e32 v10, vcc, 0, v10, vcc
	v_cmp_gt_i32_e32 vcc, 31, v11
	v_cndmask_b32_e32 v10, v2, v10, vcc
	v_cmp_ne_u32_e32 vcc, 0, v8
	v_cndmask_b32_e64 v8, 0, 1, vcc
	v_lshl_or_b32 v8, v8, 9, v2
	v_cmp_eq_u32_e32 vcc, s10, v11
	v_cndmask_b32_e32 v8, v10, v8, vcc
	v_lshrrev_b32_e32 v10, 16, v5
	v_mul_f16_sdwa v11, v65, v10 dst_sel:DWORD dst_unused:UNUSED_PAD src0_sel:WORD_1 src1_sel:DWORD
	v_fma_f16 v11, v65, v5, v11
	v_cvt_f32_f16_e32 v11, v11
	v_lshrrev_b32_e32 v9, 16, v9
	v_and_or_b32 v8, v9, s11, v8
	v_and_b32_e32 v1, 0xffff, v1
	v_lshl_or_b32 v1, v8, 16, v1
	v_cvt_f64_f32_e32 v[8:9], v11
	s_mul_i32 s0, s9, 0xfc0
	s_add_i32 s2, s2, s0
	v_mov_b32_e32 v11, s2
	v_mul_f64 v[8:9], v[8:9], s[4:5]
	v_add_co_u32_e32 v6, vcc, s3, v6
	v_addc_co_u32_e32 v7, vcc, v7, v11, vcc
	global_store_dword v[6:7], v1, off
	v_mul_f16_sdwa v5, v65, v5 dst_sel:DWORD dst_unused:UNUSED_PAD src0_sel:WORD_1 src1_sel:DWORD
	v_fma_f16 v5, v65, v10, -v5
	v_and_or_b32 v1, v9, s6, v8
	v_cmp_ne_u32_e32 vcc, 0, v1
	v_cndmask_b32_e64 v1, 0, 1, vcc
	v_lshrrev_b32_e32 v8, 8, v9
	v_bfe_u32 v11, v9, 20, 11
	v_and_or_b32 v1, v8, s7, v1
	v_sub_u32_e32 v12, 0x3f1, v11
	v_or_b32_e32 v8, 0x1000, v1
	v_med3_i32 v12, v12, 0, 13
	v_lshrrev_b32_e32 v13, v12, v8
	v_lshlrev_b32_e32 v12, v12, v13
	v_cmp_ne_u32_e32 vcc, v12, v8
	v_cndmask_b32_e64 v8, 0, 1, vcc
	v_add_u32_e32 v12, 0xfffffc10, v11
	v_cvt_f32_f16_e32 v5, v5
	v_or_b32_e32 v8, v13, v8
	v_lshl_or_b32 v11, v12, 12, v1
	v_cmp_gt_i32_e32 vcc, 1, v12
	v_cndmask_b32_e32 v8, v11, v8, vcc
	v_and_b32_e32 v11, 7, v8
	v_cmp_lt_i32_e32 vcc, 5, v11
	v_cmp_eq_u32_e64 s[0:1], 3, v11
	v_cvt_f64_f32_e32 v[10:11], v5
	v_lshrrev_b32_e32 v8, 2, v8
	s_or_b64 vcc, s[0:1], vcc
	v_addc_co_u32_e32 v5, vcc, 0, v8, vcc
	v_mul_f64 v[10:11], v[10:11], s[4:5]
	v_cmp_gt_i32_e32 vcc, 31, v12
	v_cndmask_b32_e32 v5, v2, v5, vcc
	v_cmp_ne_u32_e32 vcc, 0, v1
	v_cndmask_b32_e64 v1, 0, 1, vcc
	v_lshl_or_b32 v1, v1, 9, v2
	v_cmp_eq_u32_e32 vcc, s10, v12
	v_cndmask_b32_e32 v1, v5, v1, vcc
	v_lshrrev_b32_e32 v5, 16, v9
	v_and_or_b32 v1, v5, s11, v1
	v_and_or_b32 v5, v11, s6, v10
	v_cmp_ne_u32_e32 vcc, 0, v5
	v_cndmask_b32_e64 v5, 0, 1, vcc
	v_lshrrev_b32_e32 v8, 8, v11
	v_bfe_u32 v9, v11, 20, 11
	v_and_or_b32 v5, v8, s7, v5
	v_sub_u32_e32 v10, 0x3f1, v9
	v_or_b32_e32 v8, 0x1000, v5
	v_med3_i32 v10, v10, 0, 13
	v_lshrrev_b32_e32 v12, v10, v8
	v_lshlrev_b32_e32 v10, v10, v12
	v_cmp_ne_u32_e32 vcc, v10, v8
	v_cndmask_b32_e64 v8, 0, 1, vcc
	v_add_u32_e32 v10, 0xfffffc10, v9
	v_or_b32_e32 v8, v12, v8
	v_lshl_or_b32 v9, v10, 12, v5
	v_cmp_gt_i32_e32 vcc, 1, v10
	v_cndmask_b32_e32 v8, v9, v8, vcc
	v_and_b32_e32 v9, 7, v8
	v_cmp_lt_i32_e32 vcc, 5, v9
	v_cmp_eq_u32_e64 s[0:1], 3, v9
	v_lshrrev_b32_e32 v8, 2, v8
	s_or_b64 vcc, s[0:1], vcc
	v_addc_co_u32_e32 v8, vcc, 0, v8, vcc
	v_cmp_gt_i32_e32 vcc, 31, v10
	v_cndmask_b32_e32 v12, v2, v8, vcc
	v_add_u32_e32 v8, 0x1000, v48
	ds_read2_b32 v[8:9], v8 offset0:96 offset1:208
	v_cmp_ne_u32_e32 vcc, 0, v5
	v_cndmask_b32_e64 v5, 0, 1, vcc
	v_lshl_or_b32 v5, v5, 9, v2
	v_cmp_eq_u32_e32 vcc, s10, v10
	v_cndmask_b32_e32 v5, v12, v5, vcc
	v_lshrrev_b32_e32 v10, 16, v11
	s_waitcnt lgkmcnt(0)
	v_lshrrev_b32_e32 v12, 16, v8
	v_and_or_b32 v5, v10, s11, v5
	v_mul_f16_sdwa v10, v64, v12 dst_sel:DWORD dst_unused:UNUSED_PAD src0_sel:WORD_1 src1_sel:DWORD
	v_fma_f16 v10, v64, v8, v10
	v_cvt_f32_f16_e32 v10, v10
	s_mul_hi_u32 s1, s8, 0xfffff200
	s_mul_i32 s0, s9, 0xfffff200
	s_sub_i32 s12, s1, s8
	v_cvt_f64_f32_e32 v[10:11], v10
	v_and_b32_e32 v1, 0xffff, v1
	s_add_i32 s12, s12, s0
	v_lshl_or_b32 v1, v5, 16, v1
	v_mul_f64 v[10:11], v[10:11], s[4:5]
	v_mov_b32_e32 v13, s12
	v_add_co_u32_e32 v5, vcc, s13, v6
	v_addc_co_u32_e32 v6, vcc, v7, v13, vcc
	global_store_dword v[5:6], v1, off
	v_mul_f16_sdwa v8, v64, v8 dst_sel:DWORD dst_unused:UNUSED_PAD src0_sel:WORD_1 src1_sel:DWORD
	v_and_or_b32 v1, v11, s6, v10
	v_cmp_ne_u32_e32 vcc, 0, v1
	v_cndmask_b32_e64 v1, 0, 1, vcc
	v_lshrrev_b32_e32 v7, 8, v11
	v_bfe_u32 v10, v11, 20, 11
	v_and_or_b32 v1, v7, s7, v1
	v_sub_u32_e32 v13, 0x3f1, v10
	v_or_b32_e32 v7, 0x1000, v1
	v_med3_i32 v13, v13, 0, 13
	v_lshrrev_b32_e32 v14, v13, v7
	v_lshlrev_b32_e32 v13, v13, v14
	v_fma_f16 v8, v64, v12, -v8
	v_cmp_ne_u32_e32 vcc, v13, v7
	v_cvt_f32_f16_e32 v8, v8
	v_cndmask_b32_e64 v7, 0, 1, vcc
	v_add_u32_e32 v10, 0xfffffc10, v10
	v_or_b32_e32 v7, v14, v7
	v_lshl_or_b32 v13, v10, 12, v1
	v_cmp_gt_i32_e32 vcc, 1, v10
	v_cndmask_b32_e32 v7, v13, v7, vcc
	v_and_b32_e32 v13, 7, v7
	v_lshrrev_b32_e32 v12, 2, v7
	v_cvt_f64_f32_e32 v[7:8], v8
	v_cmp_lt_i32_e32 vcc, 5, v13
	v_cmp_eq_u32_e64 s[0:1], 3, v13
	s_or_b64 vcc, s[0:1], vcc
	v_mul_f64 v[7:8], v[7:8], s[4:5]
	v_addc_co_u32_e32 v12, vcc, 0, v12, vcc
	v_cmp_gt_i32_e32 vcc, 31, v10
	v_cndmask_b32_e32 v12, v2, v12, vcc
	v_cmp_ne_u32_e32 vcc, 0, v1
	v_cndmask_b32_e64 v1, 0, 1, vcc
	v_lshl_or_b32 v1, v1, 9, v2
	v_cmp_eq_u32_e32 vcc, s10, v10
	v_and_or_b32 v7, v8, s6, v7
	v_cndmask_b32_e32 v1, v12, v1, vcc
	v_lshrrev_b32_e32 v10, 16, v11
	v_cmp_ne_u32_e32 vcc, 0, v7
	v_and_or_b32 v1, v10, s11, v1
	v_cndmask_b32_e64 v7, 0, 1, vcc
	v_lshrrev_b32_e32 v10, 8, v8
	v_bfe_u32 v11, v8, 20, 11
	v_and_or_b32 v7, v10, s7, v7
	v_sub_u32_e32 v12, 0x3f1, v11
	v_or_b32_e32 v10, 0x1000, v7
	v_med3_i32 v12, v12, 0, 13
	v_lshrrev_b32_e32 v13, v12, v10
	v_lshlrev_b32_e32 v12, v12, v13
	v_cmp_ne_u32_e32 vcc, v12, v10
	v_cndmask_b32_e64 v10, 0, 1, vcc
	v_add_u32_e32 v12, 0xfffffc10, v11
	v_or_b32_e32 v10, v13, v10
	v_lshl_or_b32 v11, v12, 12, v7
	v_cmp_gt_i32_e32 vcc, 1, v12
	v_cndmask_b32_e32 v10, v11, v10, vcc
	v_and_b32_e32 v11, 7, v10
	v_cmp_lt_i32_e32 vcc, 5, v11
	v_cmp_eq_u32_e64 s[0:1], 3, v11
	v_lshrrev_b32_e32 v10, 2, v10
	s_or_b64 vcc, s[0:1], vcc
	v_addc_co_u32_e32 v13, vcc, 0, v10, vcc
	v_add_u32_e32 v10, 0x200, v48
	ds_read2_b32 v[10:11], v10 offset0:96 offset1:208
	v_cmp_gt_i32_e32 vcc, 31, v12
	v_cndmask_b32_e32 v13, v2, v13, vcc
	v_cmp_ne_u32_e32 vcc, 0, v7
	v_cndmask_b32_e64 v7, 0, 1, vcc
	s_waitcnt lgkmcnt(0)
	v_lshrrev_b32_e32 v14, 16, v10
	v_mul_f16_sdwa v15, v63, v14 dst_sel:DWORD dst_unused:UNUSED_PAD src0_sel:WORD_1 src1_sel:DWORD
	v_fma_f16 v15, v63, v10, v15
	v_cvt_f32_f16_e32 v15, v15
	v_lshl_or_b32 v7, v7, 9, v2
	v_cmp_eq_u32_e32 vcc, s10, v12
	v_cndmask_b32_e32 v7, v13, v7, vcc
	v_cvt_f64_f32_e32 v[12:13], v15
	v_lshrrev_b32_e32 v8, 16, v8
	v_and_or_b32 v15, v8, s11, v7
	v_and_b32_e32 v1, 0xffff, v1
	v_mul_f64 v[7:8], v[12:13], s[4:5]
	v_mov_b32_e32 v12, s2
	v_add_co_u32_e32 v5, vcc, s3, v5
	v_lshl_or_b32 v1, v15, 16, v1
	v_addc_co_u32_e32 v6, vcc, v6, v12, vcc
	global_store_dword v[5:6], v1, off
	v_and_or_b32 v1, v8, s6, v7
	v_cmp_ne_u32_e32 vcc, 0, v1
	v_cndmask_b32_e64 v1, 0, 1, vcc
	v_lshrrev_b32_e32 v7, 8, v8
	v_bfe_u32 v12, v8, 20, 11
	v_and_or_b32 v1, v7, s7, v1
	v_sub_u32_e32 v13, 0x3f1, v12
	v_or_b32_e32 v7, 0x1000, v1
	v_med3_i32 v13, v13, 0, 13
	v_lshrrev_b32_e32 v15, v13, v7
	v_lshlrev_b32_e32 v13, v13, v15
	v_cmp_ne_u32_e32 vcc, v13, v7
	v_mul_f16_sdwa v10, v63, v10 dst_sel:DWORD dst_unused:UNUSED_PAD src0_sel:WORD_1 src1_sel:DWORD
	v_cndmask_b32_e64 v7, 0, 1, vcc
	v_fma_f16 v10, v63, v14, -v10
	v_or_b32_e32 v7, v15, v7
	v_add_u32_e32 v15, 0xfffffc10, v12
	v_cvt_f32_f16_e32 v10, v10
	v_lshl_or_b32 v12, v15, 12, v1
	v_cmp_gt_i32_e32 vcc, 1, v15
	v_cndmask_b32_e32 v7, v12, v7, vcc
	v_and_b32_e32 v12, 7, v7
	v_cmp_lt_i32_e32 vcc, 5, v12
	v_cmp_eq_u32_e64 s[0:1], 3, v12
	v_cvt_f64_f32_e32 v[12:13], v10
	v_lshrrev_b32_e32 v7, 2, v7
	s_or_b64 vcc, s[0:1], vcc
	v_addc_co_u32_e32 v7, vcc, 0, v7, vcc
	v_mul_f64 v[12:13], v[12:13], s[4:5]
	v_cmp_gt_i32_e32 vcc, 31, v15
	v_cndmask_b32_e32 v7, v2, v7, vcc
	v_cmp_ne_u32_e32 vcc, 0, v1
	v_cndmask_b32_e64 v1, 0, 1, vcc
	v_lshl_or_b32 v1, v1, 9, v2
	v_cmp_eq_u32_e32 vcc, s10, v15
	v_cndmask_b32_e32 v1, v7, v1, vcc
	v_lshrrev_b32_e32 v7, 16, v8
	v_and_or_b32 v1, v7, s11, v1
	v_and_or_b32 v7, v13, s6, v12
	v_cmp_ne_u32_e32 vcc, 0, v7
	v_cndmask_b32_e64 v7, 0, 1, vcc
	v_lshrrev_b32_e32 v8, 8, v13
	v_bfe_u32 v10, v13, 20, 11
	v_and_or_b32 v7, v8, s7, v7
	v_sub_u32_e32 v12, 0x3f1, v10
	v_or_b32_e32 v8, 0x1000, v7
	v_med3_i32 v12, v12, 0, 13
	v_lshrrev_b32_e32 v14, v12, v8
	v_lshlrev_b32_e32 v12, v12, v14
	v_cmp_ne_u32_e32 vcc, v12, v8
	v_cndmask_b32_e64 v8, 0, 1, vcc
	v_add_u32_e32 v10, 0xfffffc10, v10
	v_or_b32_e32 v8, v14, v8
	v_lshl_or_b32 v12, v10, 12, v7
	v_cmp_gt_i32_e32 vcc, 1, v10
	v_cndmask_b32_e32 v8, v12, v8, vcc
	v_and_b32_e32 v12, 7, v8
	v_cmp_lt_i32_e32 vcc, 5, v12
	v_cmp_eq_u32_e64 s[0:1], 3, v12
	v_lshrrev_b32_e32 v12, 16, v9
	v_lshrrev_b32_e32 v8, 2, v8
	s_or_b64 vcc, s[0:1], vcc
	v_mul_f16_sdwa v14, v62, v12 dst_sel:DWORD dst_unused:UNUSED_PAD src0_sel:WORD_1 src1_sel:DWORD
	v_addc_co_u32_e32 v8, vcc, 0, v8, vcc
	v_fma_f16 v14, v62, v9, v14
	v_cmp_gt_i32_e32 vcc, 31, v10
	v_cvt_f32_f16_e32 v14, v14
	v_cndmask_b32_e32 v8, v2, v8, vcc
	v_cmp_ne_u32_e32 vcc, 0, v7
	v_cndmask_b32_e64 v7, 0, 1, vcc
	v_lshl_or_b32 v7, v7, 9, v2
	v_cmp_eq_u32_e32 vcc, s10, v10
	v_cndmask_b32_e32 v10, v8, v7, vcc
	v_cvt_f64_f32_e32 v[7:8], v14
	v_lshrrev_b32_e32 v13, 16, v13
	v_and_or_b32 v10, v13, s11, v10
	v_and_b32_e32 v1, 0xffff, v1
	v_mul_f64 v[7:8], v[7:8], s[4:5]
	v_lshl_or_b32 v1, v10, 16, v1
	v_mov_b32_e32 v10, s12
	v_add_co_u32_e32 v5, vcc, s13, v5
	v_addc_co_u32_e32 v6, vcc, v6, v10, vcc
	global_store_dword v[5:6], v1, off
	v_and_or_b32 v1, v8, s6, v7
	v_cmp_ne_u32_e32 vcc, 0, v1
	v_cndmask_b32_e64 v1, 0, 1, vcc
	v_lshrrev_b32_e32 v7, 8, v8
	v_bfe_u32 v10, v8, 20, 11
	v_and_or_b32 v1, v7, s7, v1
	v_sub_u32_e32 v13, 0x3f1, v10
	v_or_b32_e32 v7, 0x1000, v1
	v_med3_i32 v13, v13, 0, 13
	v_lshrrev_b32_e32 v14, v13, v7
	v_lshlrev_b32_e32 v13, v13, v14
	v_mul_f16_sdwa v9, v62, v9 dst_sel:DWORD dst_unused:UNUSED_PAD src0_sel:WORD_1 src1_sel:DWORD
	v_cmp_ne_u32_e32 vcc, v13, v7
	v_fma_f16 v9, v62, v12, -v9
	v_cndmask_b32_e64 v7, 0, 1, vcc
	v_add_u32_e32 v13, 0xfffffc10, v10
	v_cvt_f32_f16_e32 v9, v9
	v_or_b32_e32 v7, v14, v7
	v_lshl_or_b32 v10, v13, 12, v1
	v_cmp_gt_i32_e32 vcc, 1, v13
	v_cndmask_b32_e32 v7, v10, v7, vcc
	v_and_b32_e32 v10, 7, v7
	v_cmp_lt_i32_e32 vcc, 5, v10
	v_cmp_eq_u32_e64 s[0:1], 3, v10
	v_cvt_f64_f32_e32 v[9:10], v9
	v_lshrrev_b32_e32 v7, 2, v7
	s_or_b64 vcc, s[0:1], vcc
	v_addc_co_u32_e32 v7, vcc, 0, v7, vcc
	v_mul_f64 v[9:10], v[9:10], s[4:5]
	v_cmp_gt_i32_e32 vcc, 31, v13
	v_cndmask_b32_e32 v7, v2, v7, vcc
	v_cmp_ne_u32_e32 vcc, 0, v1
	v_cndmask_b32_e64 v1, 0, 1, vcc
	v_lshl_or_b32 v1, v1, 9, v2
	v_cmp_eq_u32_e32 vcc, s10, v13
	v_cndmask_b32_e32 v1, v7, v1, vcc
	v_lshrrev_b32_e32 v7, 16, v8
	v_and_or_b32 v1, v7, s11, v1
	v_and_or_b32 v7, v10, s6, v9
	v_cmp_ne_u32_e32 vcc, 0, v7
	v_cndmask_b32_e64 v7, 0, 1, vcc
	v_lshrrev_b32_e32 v8, 8, v10
	v_bfe_u32 v9, v10, 20, 11
	v_and_or_b32 v7, v8, s7, v7
	v_sub_u32_e32 v12, 0x3f1, v9
	v_or_b32_e32 v8, 0x1000, v7
	v_med3_i32 v12, v12, 0, 13
	v_lshrrev_b32_e32 v13, v12, v8
	v_lshlrev_b32_e32 v12, v12, v13
	v_cmp_ne_u32_e32 vcc, v12, v8
	v_cndmask_b32_e64 v8, 0, 1, vcc
	v_add_u32_e32 v9, 0xfffffc10, v9
	v_or_b32_e32 v8, v13, v8
	v_lshl_or_b32 v12, v9, 12, v7
	v_cmp_gt_i32_e32 vcc, 1, v9
	v_cndmask_b32_e32 v8, v12, v8, vcc
	v_and_b32_e32 v12, 7, v8
	v_cmp_lt_i32_e32 vcc, 5, v12
	v_cmp_eq_u32_e64 s[0:1], 3, v12
	v_lshrrev_b32_e32 v12, 16, v11
	v_lshrrev_b32_e32 v8, 2, v8
	s_or_b64 vcc, s[0:1], vcc
	v_mul_f16_sdwa v13, v60, v12 dst_sel:DWORD dst_unused:UNUSED_PAD src0_sel:WORD_1 src1_sel:DWORD
	v_addc_co_u32_e32 v8, vcc, 0, v8, vcc
	v_fma_f16 v13, v60, v11, v13
	v_cmp_gt_i32_e32 vcc, 31, v9
	v_cvt_f32_f16_e32 v13, v13
	v_cndmask_b32_e32 v8, v2, v8, vcc
	v_cmp_ne_u32_e32 vcc, 0, v7
	v_cndmask_b32_e64 v7, 0, 1, vcc
	v_lshl_or_b32 v7, v7, 9, v2
	v_cmp_eq_u32_e32 vcc, s10, v9
	v_cndmask_b32_e32 v9, v8, v7, vcc
	v_cvt_f64_f32_e32 v[7:8], v13
	v_lshrrev_b32_e32 v10, 16, v10
	v_and_or_b32 v9, v10, s11, v9
	v_and_b32_e32 v1, 0xffff, v1
	v_mul_f64 v[7:8], v[7:8], s[4:5]
	v_lshl_or_b32 v1, v9, 16, v1
	v_mov_b32_e32 v9, s2
	v_add_co_u32_e32 v5, vcc, s3, v5
	v_addc_co_u32_e32 v6, vcc, v6, v9, vcc
	global_store_dword v[5:6], v1, off
	v_and_or_b32 v1, v8, s6, v7
	v_cmp_ne_u32_e32 vcc, 0, v1
	v_cndmask_b32_e64 v1, 0, 1, vcc
	v_lshrrev_b32_e32 v7, 8, v8
	v_bfe_u32 v9, v8, 20, 11
	v_and_or_b32 v1, v7, s7, v1
	v_sub_u32_e32 v10, 0x3f1, v9
	v_or_b32_e32 v7, 0x1000, v1
	v_med3_i32 v10, v10, 0, 13
	v_lshrrev_b32_e32 v13, v10, v7
	v_lshlrev_b32_e32 v10, v10, v13
	v_cmp_ne_u32_e32 vcc, v10, v7
	v_mul_f16_sdwa v10, v60, v11 dst_sel:DWORD dst_unused:UNUSED_PAD src0_sel:WORD_1 src1_sel:DWORD
	v_cndmask_b32_e64 v7, 0, 1, vcc
	v_fma_f16 v10, v60, v12, -v10
	v_or_b32_e32 v7, v13, v7
	v_add_u32_e32 v13, 0xfffffc10, v9
	v_cvt_f32_f16_e32 v10, v10
	v_lshl_or_b32 v9, v13, 12, v1
	v_cmp_gt_i32_e32 vcc, 1, v13
	v_cndmask_b32_e32 v7, v9, v7, vcc
	v_and_b32_e32 v9, 7, v7
	v_cmp_lt_i32_e32 vcc, 5, v9
	v_cmp_eq_u32_e64 s[0:1], 3, v9
	v_cvt_f64_f32_e32 v[9:10], v10
	v_lshrrev_b32_e32 v7, 2, v7
	s_or_b64 vcc, s[0:1], vcc
	v_addc_co_u32_e32 v7, vcc, 0, v7, vcc
	v_mul_f64 v[9:10], v[9:10], s[4:5]
	v_cmp_gt_i32_e32 vcc, 31, v13
	v_cndmask_b32_e32 v7, v2, v7, vcc
	v_cmp_ne_u32_e32 vcc, 0, v1
	v_cndmask_b32_e64 v1, 0, 1, vcc
	v_lshl_or_b32 v1, v1, 9, v2
	v_cmp_eq_u32_e32 vcc, s10, v13
	v_cndmask_b32_e32 v1, v7, v1, vcc
	v_lshrrev_b32_e32 v7, 16, v8
	v_and_or_b32 v1, v7, s11, v1
	v_and_or_b32 v7, v10, s6, v9
	v_cmp_ne_u32_e32 vcc, 0, v7
	v_cndmask_b32_e64 v7, 0, 1, vcc
	v_lshrrev_b32_e32 v8, 8, v10
	v_and_or_b32 v9, v8, s7, v7
	v_bfe_u32 v8, v10, 20, 11
	v_sub_u32_e32 v11, 0x3f1, v8
	v_or_b32_e32 v7, 0x1000, v9
	v_med3_i32 v11, v11, 0, 13
	v_lshrrev_b32_e32 v12, v11, v7
	v_lshlrev_b32_e32 v11, v11, v12
	v_cmp_ne_u32_e32 vcc, v11, v7
	v_cndmask_b32_e64 v7, 0, 1, vcc
	v_add_u32_e32 v11, 0xfffffc10, v8
	v_or_b32_e32 v7, v12, v7
	v_lshl_or_b32 v8, v11, 12, v9
	v_cmp_gt_i32_e32 vcc, 1, v11
	v_cndmask_b32_e32 v7, v8, v7, vcc
	v_and_b32_e32 v8, 7, v7
	v_cmp_lt_i32_e32 vcc, 5, v8
	v_cmp_eq_u32_e64 s[0:1], 3, v8
	v_lshrrev_b32_e32 v7, 2, v7
	s_or_b64 vcc, s[0:1], vcc
	v_addc_co_u32_e32 v12, vcc, 0, v7, vcc
	v_add_u32_e32 v7, 0x1400, v48
	ds_read2_b32 v[7:8], v7 offset0:64 offset1:176
	v_cmp_gt_i32_e32 vcc, 31, v11
	v_cndmask_b32_e32 v12, v2, v12, vcc
	v_cmp_ne_u32_e32 vcc, 0, v9
	v_cndmask_b32_e64 v9, 0, 1, vcc
	s_waitcnt lgkmcnt(0)
	v_lshrrev_b32_e32 v13, 16, v7
	v_mul_f16_sdwa v14, v61, v13 dst_sel:DWORD dst_unused:UNUSED_PAD src0_sel:WORD_1 src1_sel:DWORD
	v_fma_f16 v14, v61, v7, v14
	v_cvt_f32_f16_e32 v14, v14
	v_lshl_or_b32 v9, v9, 9, v2
	v_cmp_eq_u32_e32 vcc, s10, v11
	v_cndmask_b32_e32 v9, v12, v9, vcc
	v_cvt_f64_f32_e32 v[11:12], v14
	v_lshrrev_b32_e32 v10, 16, v10
	v_and_or_b32 v14, v10, s11, v9
	v_and_b32_e32 v1, 0xffff, v1
	v_mul_f64 v[9:10], v[11:12], s[4:5]
	v_mov_b32_e32 v11, s12
	v_add_co_u32_e32 v5, vcc, s13, v5
	v_lshl_or_b32 v1, v14, 16, v1
	v_addc_co_u32_e32 v6, vcc, v6, v11, vcc
	global_store_dword v[5:6], v1, off
	v_and_or_b32 v1, v10, s6, v9
	v_cmp_ne_u32_e32 vcc, 0, v1
	v_cndmask_b32_e64 v1, 0, 1, vcc
	v_lshrrev_b32_e32 v9, 8, v10
	v_bfe_u32 v11, v10, 20, 11
	v_and_or_b32 v1, v9, s7, v1
	v_sub_u32_e32 v12, 0x3f1, v11
	v_or_b32_e32 v9, 0x1000, v1
	v_med3_i32 v12, v12, 0, 13
	v_lshrrev_b32_e32 v14, v12, v9
	v_lshlrev_b32_e32 v12, v12, v14
	v_cmp_ne_u32_e32 vcc, v12, v9
	v_mul_f16_sdwa v7, v61, v7 dst_sel:DWORD dst_unused:UNUSED_PAD src0_sel:WORD_1 src1_sel:DWORD
	v_cndmask_b32_e64 v9, 0, 1, vcc
	v_fma_f16 v7, v61, v13, -v7
	v_or_b32_e32 v9, v14, v9
	v_add_u32_e32 v14, 0xfffffc10, v11
	v_cvt_f32_f16_e32 v7, v7
	v_lshl_or_b32 v11, v14, 12, v1
	v_cmp_gt_i32_e32 vcc, 1, v14
	v_cndmask_b32_e32 v9, v11, v9, vcc
	v_and_b32_e32 v11, 7, v9
	v_cmp_lt_i32_e32 vcc, 5, v11
	v_cmp_eq_u32_e64 s[0:1], 3, v11
	v_cvt_f64_f32_e32 v[11:12], v7
	v_lshrrev_b32_e32 v9, 2, v9
	s_or_b64 vcc, s[0:1], vcc
	v_addc_co_u32_e32 v7, vcc, 0, v9, vcc
	v_mul_f64 v[11:12], v[11:12], s[4:5]
	v_cmp_gt_i32_e32 vcc, 31, v14
	v_cndmask_b32_e32 v7, v2, v7, vcc
	v_cmp_ne_u32_e32 vcc, 0, v1
	v_cndmask_b32_e64 v1, 0, 1, vcc
	v_lshl_or_b32 v1, v1, 9, v2
	v_cmp_eq_u32_e32 vcc, s10, v14
	v_cndmask_b32_e32 v1, v7, v1, vcc
	v_lshrrev_b32_e32 v7, 16, v10
	v_and_or_b32 v1, v7, s11, v1
	v_and_or_b32 v7, v12, s6, v11
	v_cmp_ne_u32_e32 vcc, 0, v7
	v_cndmask_b32_e64 v7, 0, 1, vcc
	v_lshrrev_b32_e32 v9, 8, v12
	v_bfe_u32 v10, v12, 20, 11
	v_and_or_b32 v7, v9, s7, v7
	v_sub_u32_e32 v11, 0x3f1, v10
	v_or_b32_e32 v9, 0x1000, v7
	v_med3_i32 v11, v11, 0, 13
	v_lshrrev_b32_e32 v13, v11, v9
	v_lshlrev_b32_e32 v11, v11, v13
	v_cmp_ne_u32_e32 vcc, v11, v9
	v_cndmask_b32_e64 v9, 0, 1, vcc
	v_add_u32_e32 v11, 0xfffffc10, v10
	v_or_b32_e32 v9, v13, v9
	v_lshl_or_b32 v10, v11, 12, v7
	v_cmp_gt_i32_e32 vcc, 1, v11
	v_cndmask_b32_e32 v9, v10, v9, vcc
	v_and_b32_e32 v10, 7, v9
	v_cmp_lt_i32_e32 vcc, 5, v10
	v_cmp_eq_u32_e64 s[0:1], 3, v10
	v_lshrrev_b32_e32 v9, 2, v9
	s_or_b64 vcc, s[0:1], vcc
	v_addc_co_u32_e32 v13, vcc, 0, v9, vcc
	v_add_u32_e32 v9, 0x600, v48
	ds_read2_b32 v[9:10], v9 offset0:64 offset1:176
	v_cmp_gt_i32_e32 vcc, 31, v11
	v_cndmask_b32_e32 v13, v2, v13, vcc
	v_cmp_ne_u32_e32 vcc, 0, v7
	v_cndmask_b32_e64 v7, 0, 1, vcc
	s_waitcnt lgkmcnt(0)
	v_lshrrev_b32_e32 v15, 16, v9
	v_mul_f16_sdwa v14, v58, v15 dst_sel:DWORD dst_unused:UNUSED_PAD src0_sel:WORD_1 src1_sel:DWORD
	v_fma_f16 v14, v58, v9, v14
	v_cvt_f32_f16_e32 v14, v14
	v_lshl_or_b32 v7, v7, 9, v2
	v_cmp_eq_u32_e32 vcc, s10, v11
	v_cndmask_b32_e32 v7, v13, v7, vcc
	v_cvt_f64_f32_e32 v[13:14], v14
	v_lshrrev_b32_e32 v11, 16, v12
	v_and_or_b32 v7, v11, s11, v7
	v_and_b32_e32 v1, 0xffff, v1
	v_mul_f64 v[11:12], v[13:14], s[4:5]
	v_lshl_or_b32 v1, v7, 16, v1
	v_mov_b32_e32 v7, s2
	v_add_co_u32_e32 v5, vcc, s3, v5
	v_addc_co_u32_e32 v6, vcc, v6, v7, vcc
	global_store_dword v[5:6], v1, off
	v_and_or_b32 v1, v12, s6, v11
	v_cmp_ne_u32_e32 vcc, 0, v1
	v_cndmask_b32_e64 v1, 0, 1, vcc
	v_lshrrev_b32_e32 v7, 8, v12
	v_bfe_u32 v11, v12, 20, 11
	v_and_or_b32 v1, v7, s7, v1
	v_sub_u32_e32 v13, 0x3f1, v11
	v_or_b32_e32 v7, 0x1000, v1
	v_med3_i32 v13, v13, 0, 13
	v_lshrrev_b32_e32 v14, v13, v7
	v_lshlrev_b32_e32 v13, v13, v14
	v_mul_f16_sdwa v9, v58, v9 dst_sel:DWORD dst_unused:UNUSED_PAD src0_sel:WORD_1 src1_sel:DWORD
	v_cmp_ne_u32_e32 vcc, v13, v7
	v_fma_f16 v9, v58, v15, -v9
	v_cndmask_b32_e64 v7, 0, 1, vcc
	v_add_u32_e32 v11, 0xfffffc10, v11
	v_cvt_f32_f16_e32 v9, v9
	v_or_b32_e32 v7, v14, v7
	v_lshl_or_b32 v13, v11, 12, v1
	v_cmp_gt_i32_e32 vcc, 1, v11
	v_cndmask_b32_e32 v7, v13, v7, vcc
	v_and_b32_e32 v13, 7, v7
	v_cmp_lt_i32_e32 vcc, 5, v13
	v_cmp_eq_u32_e64 s[0:1], 3, v13
	v_cvt_f64_f32_e32 v[13:14], v9
	v_lshrrev_b32_e32 v7, 2, v7
	s_or_b64 vcc, s[0:1], vcc
	v_addc_co_u32_e32 v7, vcc, 0, v7, vcc
	v_mul_f64 v[13:14], v[13:14], s[4:5]
	v_cmp_gt_i32_e32 vcc, 31, v11
	v_cndmask_b32_e32 v7, v2, v7, vcc
	v_cmp_ne_u32_e32 vcc, 0, v1
	v_cndmask_b32_e64 v1, 0, 1, vcc
	v_lshl_or_b32 v1, v1, 9, v2
	v_cmp_eq_u32_e32 vcc, s10, v11
	v_cndmask_b32_e32 v1, v7, v1, vcc
	v_lshrrev_b32_e32 v7, 16, v12
	v_and_or_b32 v1, v7, s11, v1
	v_and_or_b32 v7, v14, s6, v13
	v_cmp_ne_u32_e32 vcc, 0, v7
	v_cndmask_b32_e64 v7, 0, 1, vcc
	v_lshrrev_b32_e32 v9, 8, v14
	v_bfe_u32 v11, v14, 20, 11
	v_and_or_b32 v7, v9, s7, v7
	v_sub_u32_e32 v12, 0x3f1, v11
	v_or_b32_e32 v9, 0x1000, v7
	v_med3_i32 v12, v12, 0, 13
	v_lshrrev_b32_e32 v13, v12, v9
	v_lshlrev_b32_e32 v12, v12, v13
	v_cmp_ne_u32_e32 vcc, v12, v9
	v_cndmask_b32_e64 v9, 0, 1, vcc
	v_add_u32_e32 v11, 0xfffffc10, v11
	v_or_b32_e32 v9, v13, v9
	v_lshl_or_b32 v12, v11, 12, v7
	v_cmp_gt_i32_e32 vcc, 1, v11
	v_cndmask_b32_e32 v9, v12, v9, vcc
	v_and_b32_e32 v12, 7, v9
	v_lshrrev_b32_e32 v13, 16, v8
	v_cmp_lt_i32_e32 vcc, 5, v12
	v_cmp_eq_u32_e64 s[0:1], 3, v12
	v_mul_f16_sdwa v12, v59, v13 dst_sel:DWORD dst_unused:UNUSED_PAD src0_sel:WORD_1 src1_sel:DWORD
	v_fma_f16 v12, v59, v8, v12
	v_lshrrev_b32_e32 v9, 2, v9
	s_or_b64 vcc, s[0:1], vcc
	v_cvt_f32_f16_e32 v12, v12
	v_addc_co_u32_e32 v9, vcc, 0, v9, vcc
	v_cmp_gt_i32_e32 vcc, 31, v11
	v_cndmask_b32_e32 v9, v2, v9, vcc
	v_cmp_ne_u32_e32 vcc, 0, v7
	v_cndmask_b32_e64 v7, 0, 1, vcc
	v_cmp_eq_u32_e32 vcc, s10, v11
	v_cvt_f64_f32_e32 v[11:12], v12
	v_lshl_or_b32 v7, v7, 9, v2
	v_cndmask_b32_e32 v7, v9, v7, vcc
	v_lshrrev_b32_e32 v9, 16, v14
	v_mul_f64 v[11:12], v[11:12], s[4:5]
	v_and_or_b32 v7, v9, s11, v7
	v_and_b32_e32 v1, 0xffff, v1
	v_lshl_or_b32 v1, v7, 16, v1
	v_mov_b32_e32 v7, s12
	v_add_co_u32_e32 v5, vcc, s13, v5
	v_addc_co_u32_e32 v6, vcc, v6, v7, vcc
	global_store_dword v[5:6], v1, off
	v_and_or_b32 v1, v12, s6, v11
	v_cmp_ne_u32_e32 vcc, 0, v1
	v_cndmask_b32_e64 v1, 0, 1, vcc
	v_lshrrev_b32_e32 v7, 8, v12
	v_bfe_u32 v9, v12, 20, 11
	v_and_or_b32 v1, v7, s7, v1
	v_sub_u32_e32 v11, 0x3f1, v9
	v_or_b32_e32 v7, 0x1000, v1
	v_med3_i32 v11, v11, 0, 13
	v_lshrrev_b32_e32 v14, v11, v7
	v_lshlrev_b32_e32 v11, v11, v14
	v_mul_f16_sdwa v8, v59, v8 dst_sel:DWORD dst_unused:UNUSED_PAD src0_sel:WORD_1 src1_sel:DWORD
	v_cmp_ne_u32_e32 vcc, v11, v7
	v_fma_f16 v8, v59, v13, -v8
	v_cndmask_b32_e64 v7, 0, 1, vcc
	v_add_u32_e32 v9, 0xfffffc10, v9
	v_cvt_f32_f16_e32 v8, v8
	v_or_b32_e32 v7, v14, v7
	v_lshl_or_b32 v11, v9, 12, v1
	v_cmp_gt_i32_e32 vcc, 1, v9
	v_cndmask_b32_e32 v7, v11, v7, vcc
	v_and_b32_e32 v11, 7, v7
	v_cmp_lt_i32_e32 vcc, 5, v11
	v_cmp_eq_u32_e64 s[0:1], 3, v11
	v_lshrrev_b32_e32 v11, 2, v7
	v_cvt_f64_f32_e32 v[7:8], v8
	s_or_b64 vcc, s[0:1], vcc
	v_addc_co_u32_e32 v11, vcc, 0, v11, vcc
	v_mul_f64 v[7:8], v[7:8], s[4:5]
	v_cmp_gt_i32_e32 vcc, 31, v9
	v_cndmask_b32_e32 v11, v2, v11, vcc
	v_cmp_ne_u32_e32 vcc, 0, v1
	v_cndmask_b32_e64 v1, 0, 1, vcc
	v_lshl_or_b32 v1, v1, 9, v2
	v_cmp_eq_u32_e32 vcc, s10, v9
	v_cndmask_b32_e32 v1, v11, v1, vcc
	v_and_or_b32 v7, v8, s6, v7
	v_lshrrev_b32_e32 v9, 16, v12
	v_cmp_ne_u32_e32 vcc, 0, v7
	v_and_or_b32 v1, v9, s11, v1
	v_cndmask_b32_e64 v7, 0, 1, vcc
	v_lshrrev_b32_e32 v9, 8, v8
	v_bfe_u32 v11, v8, 20, 11
	v_and_or_b32 v7, v9, s7, v7
	v_sub_u32_e32 v12, 0x3f1, v11
	v_or_b32_e32 v9, 0x1000, v7
	v_med3_i32 v12, v12, 0, 13
	v_lshrrev_b32_e32 v13, v12, v9
	v_lshlrev_b32_e32 v12, v12, v13
	v_cmp_ne_u32_e32 vcc, v12, v9
	v_cndmask_b32_e64 v9, 0, 1, vcc
	v_add_u32_e32 v11, 0xfffffc10, v11
	v_or_b32_e32 v9, v13, v9
	v_lshl_or_b32 v12, v11, 12, v7
	v_cmp_gt_i32_e32 vcc, 1, v11
	v_cndmask_b32_e32 v9, v12, v9, vcc
	v_and_b32_e32 v12, 7, v9
	v_lshrrev_b32_e32 v13, 16, v10
	v_cmp_lt_i32_e32 vcc, 5, v12
	v_cmp_eq_u32_e64 s[0:1], 3, v12
	v_mul_f16_sdwa v12, v56, v13 dst_sel:DWORD dst_unused:UNUSED_PAD src0_sel:WORD_1 src1_sel:DWORD
	v_fma_f16 v12, v56, v10, v12
	v_lshrrev_b32_e32 v9, 2, v9
	s_or_b64 vcc, s[0:1], vcc
	v_cvt_f32_f16_e32 v12, v12
	v_addc_co_u32_e32 v9, vcc, 0, v9, vcc
	v_cmp_gt_i32_e32 vcc, 31, v11
	v_cndmask_b32_e32 v9, v2, v9, vcc
	v_cmp_ne_u32_e32 vcc, 0, v7
	v_cndmask_b32_e64 v7, 0, 1, vcc
	v_cmp_eq_u32_e32 vcc, s10, v11
	v_cvt_f64_f32_e32 v[11:12], v12
	v_lshl_or_b32 v7, v7, 9, v2
	v_cndmask_b32_e32 v7, v9, v7, vcc
	v_lshrrev_b32_e32 v8, 16, v8
	v_and_or_b32 v9, v8, s11, v7
	v_mul_f64 v[7:8], v[11:12], s[4:5]
	v_and_b32_e32 v1, 0xffff, v1
	v_lshl_or_b32 v1, v9, 16, v1
	v_mov_b32_e32 v9, s2
	v_add_co_u32_e32 v5, vcc, s3, v5
	v_addc_co_u32_e32 v6, vcc, v6, v9, vcc
	global_store_dword v[5:6], v1, off
	v_and_or_b32 v1, v8, s6, v7
	v_cmp_ne_u32_e32 vcc, 0, v1
	v_cndmask_b32_e64 v1, 0, 1, vcc
	v_lshrrev_b32_e32 v7, 8, v8
	v_bfe_u32 v9, v8, 20, 11
	v_and_or_b32 v1, v7, s7, v1
	v_sub_u32_e32 v11, 0x3f1, v9
	v_or_b32_e32 v7, 0x1000, v1
	v_med3_i32 v11, v11, 0, 13
	v_lshrrev_b32_e32 v12, v11, v7
	v_lshlrev_b32_e32 v11, v11, v12
	v_mul_f16_sdwa v10, v56, v10 dst_sel:DWORD dst_unused:UNUSED_PAD src0_sel:WORD_1 src1_sel:DWORD
	v_cmp_ne_u32_e32 vcc, v11, v7
	v_fma_f16 v10, v56, v13, -v10
	v_cndmask_b32_e64 v7, 0, 1, vcc
	v_add_u32_e32 v11, 0xfffffc10, v9
	v_cvt_f32_f16_e32 v10, v10
	v_or_b32_e32 v7, v12, v7
	v_lshl_or_b32 v9, v11, 12, v1
	v_cmp_gt_i32_e32 vcc, 1, v11
	v_cndmask_b32_e32 v7, v9, v7, vcc
	v_and_b32_e32 v9, 7, v7
	v_cmp_lt_i32_e32 vcc, 5, v9
	v_cmp_eq_u32_e64 s[0:1], 3, v9
	v_cvt_f64_f32_e32 v[9:10], v10
	v_lshrrev_b32_e32 v7, 2, v7
	s_or_b64 vcc, s[0:1], vcc
	v_addc_co_u32_e32 v7, vcc, 0, v7, vcc
	v_mul_f64 v[9:10], v[9:10], s[4:5]
	v_cmp_gt_i32_e32 vcc, 31, v11
	v_cndmask_b32_e32 v7, v2, v7, vcc
	v_cmp_ne_u32_e32 vcc, 0, v1
	v_cndmask_b32_e64 v1, 0, 1, vcc
	v_lshl_or_b32 v1, v1, 9, v2
	v_cmp_eq_u32_e32 vcc, s10, v11
	v_cndmask_b32_e32 v1, v7, v1, vcc
	v_lshrrev_b32_e32 v7, 16, v8
	v_and_or_b32 v1, v7, s11, v1
	v_and_or_b32 v7, v10, s6, v9
	v_cmp_ne_u32_e32 vcc, 0, v7
	v_cndmask_b32_e64 v7, 0, 1, vcc
	v_lshrrev_b32_e32 v8, 8, v10
	v_and_or_b32 v9, v8, s7, v7
	v_bfe_u32 v8, v10, 20, 11
	v_sub_u32_e32 v11, 0x3f1, v8
	v_or_b32_e32 v7, 0x1000, v9
	v_med3_i32 v11, v11, 0, 13
	v_lshrrev_b32_e32 v12, v11, v7
	v_lshlrev_b32_e32 v11, v11, v12
	v_cmp_ne_u32_e32 vcc, v11, v7
	v_cndmask_b32_e64 v7, 0, 1, vcc
	v_add_u32_e32 v11, 0xfffffc10, v8
	v_or_b32_e32 v7, v12, v7
	v_lshl_or_b32 v8, v11, 12, v9
	v_cmp_gt_i32_e32 vcc, 1, v11
	v_cndmask_b32_e32 v7, v8, v7, vcc
	v_and_b32_e32 v8, 7, v7
	v_cmp_lt_i32_e32 vcc, 5, v8
	v_cmp_eq_u32_e64 s[0:1], 3, v8
	v_lshrrev_b32_e32 v7, 2, v7
	s_or_b64 vcc, s[0:1], vcc
	v_addc_co_u32_e32 v12, vcc, 0, v7, vcc
	v_add_u32_e32 v7, 0x1800, v48
	ds_read2_b32 v[7:8], v7 offset0:32 offset1:144
	v_cmp_gt_i32_e32 vcc, 31, v11
	v_cndmask_b32_e32 v12, v2, v12, vcc
	v_cmp_ne_u32_e32 vcc, 0, v9
	v_cndmask_b32_e64 v9, 0, 1, vcc
	s_waitcnt lgkmcnt(0)
	v_lshrrev_b32_e32 v13, 16, v7
	v_mul_f16_sdwa v14, v57, v13 dst_sel:DWORD dst_unused:UNUSED_PAD src0_sel:WORD_1 src1_sel:DWORD
	v_fma_f16 v14, v57, v7, v14
	v_cvt_f32_f16_e32 v14, v14
	v_lshl_or_b32 v9, v9, 9, v2
	v_cmp_eq_u32_e32 vcc, s10, v11
	v_cndmask_b32_e32 v9, v12, v9, vcc
	v_cvt_f64_f32_e32 v[11:12], v14
	v_lshrrev_b32_e32 v10, 16, v10
	v_and_or_b32 v14, v10, s11, v9
	v_and_b32_e32 v1, 0xffff, v1
	v_mul_f64 v[9:10], v[11:12], s[4:5]
	v_mov_b32_e32 v11, s12
	v_add_co_u32_e32 v5, vcc, s13, v5
	v_lshl_or_b32 v1, v14, 16, v1
	v_addc_co_u32_e32 v6, vcc, v6, v11, vcc
	global_store_dword v[5:6], v1, off
	v_and_or_b32 v1, v10, s6, v9
	v_cmp_ne_u32_e32 vcc, 0, v1
	v_cndmask_b32_e64 v1, 0, 1, vcc
	v_lshrrev_b32_e32 v9, 8, v10
	v_bfe_u32 v11, v10, 20, 11
	v_and_or_b32 v1, v9, s7, v1
	v_sub_u32_e32 v12, 0x3f1, v11
	v_or_b32_e32 v9, 0x1000, v1
	v_med3_i32 v12, v12, 0, 13
	v_lshrrev_b32_e32 v14, v12, v9
	v_lshlrev_b32_e32 v12, v12, v14
	v_cmp_ne_u32_e32 vcc, v12, v9
	v_mul_f16_sdwa v7, v57, v7 dst_sel:DWORD dst_unused:UNUSED_PAD src0_sel:WORD_1 src1_sel:DWORD
	v_cndmask_b32_e64 v9, 0, 1, vcc
	v_fma_f16 v7, v57, v13, -v7
	v_or_b32_e32 v9, v14, v9
	v_add_u32_e32 v14, 0xfffffc10, v11
	v_cvt_f32_f16_e32 v7, v7
	v_lshl_or_b32 v11, v14, 12, v1
	v_cmp_gt_i32_e32 vcc, 1, v14
	v_cndmask_b32_e32 v9, v11, v9, vcc
	v_and_b32_e32 v11, 7, v9
	v_cmp_lt_i32_e32 vcc, 5, v11
	v_cmp_eq_u32_e64 s[0:1], 3, v11
	v_cvt_f64_f32_e32 v[11:12], v7
	v_lshrrev_b32_e32 v9, 2, v9
	s_or_b64 vcc, s[0:1], vcc
	v_addc_co_u32_e32 v7, vcc, 0, v9, vcc
	v_mul_f64 v[11:12], v[11:12], s[4:5]
	v_cmp_gt_i32_e32 vcc, 31, v14
	v_cndmask_b32_e32 v7, v2, v7, vcc
	v_cmp_ne_u32_e32 vcc, 0, v1
	v_cndmask_b32_e64 v1, 0, 1, vcc
	v_lshl_or_b32 v1, v1, 9, v2
	v_cmp_eq_u32_e32 vcc, s10, v14
	v_cndmask_b32_e32 v1, v7, v1, vcc
	v_lshrrev_b32_e32 v7, 16, v10
	v_and_or_b32 v1, v7, s11, v1
	v_and_or_b32 v7, v12, s6, v11
	v_cmp_ne_u32_e32 vcc, 0, v7
	v_cndmask_b32_e64 v7, 0, 1, vcc
	v_lshrrev_b32_e32 v9, 8, v12
	v_bfe_u32 v10, v12, 20, 11
	v_and_or_b32 v7, v9, s7, v7
	v_sub_u32_e32 v11, 0x3f1, v10
	v_or_b32_e32 v9, 0x1000, v7
	v_med3_i32 v11, v11, 0, 13
	v_lshrrev_b32_e32 v13, v11, v9
	v_lshlrev_b32_e32 v11, v11, v13
	v_cmp_ne_u32_e32 vcc, v11, v9
	v_cndmask_b32_e64 v9, 0, 1, vcc
	v_add_u32_e32 v11, 0xfffffc10, v10
	v_or_b32_e32 v9, v13, v9
	v_lshl_or_b32 v10, v11, 12, v7
	v_cmp_gt_i32_e32 vcc, 1, v11
	v_cndmask_b32_e32 v9, v10, v9, vcc
	v_and_b32_e32 v10, 7, v9
	v_cmp_lt_i32_e32 vcc, 5, v10
	v_cmp_eq_u32_e64 s[0:1], 3, v10
	v_lshrrev_b32_e32 v9, 2, v9
	s_or_b64 vcc, s[0:1], vcc
	v_addc_co_u32_e32 v13, vcc, 0, v9, vcc
	v_add_u32_e32 v9, 0xa00, v48
	ds_read2_b32 v[9:10], v9 offset0:32 offset1:144
	v_cmp_gt_i32_e32 vcc, 31, v11
	v_cndmask_b32_e32 v13, v2, v13, vcc
	v_cmp_ne_u32_e32 vcc, 0, v7
	v_cndmask_b32_e64 v7, 0, 1, vcc
	s_waitcnt lgkmcnt(0)
	v_lshrrev_b32_e32 v15, 16, v9
	v_mul_f16_sdwa v14, v55, v15 dst_sel:DWORD dst_unused:UNUSED_PAD src0_sel:WORD_1 src1_sel:DWORD
	v_fma_f16 v14, v55, v9, v14
	v_cvt_f32_f16_e32 v14, v14
	v_lshl_or_b32 v7, v7, 9, v2
	v_cmp_eq_u32_e32 vcc, s10, v11
	v_cndmask_b32_e32 v7, v13, v7, vcc
	v_cvt_f64_f32_e32 v[13:14], v14
	v_lshrrev_b32_e32 v11, 16, v12
	v_and_or_b32 v7, v11, s11, v7
	v_and_b32_e32 v1, 0xffff, v1
	v_mul_f64 v[11:12], v[13:14], s[4:5]
	v_lshl_or_b32 v1, v7, 16, v1
	v_mov_b32_e32 v7, s2
	v_add_co_u32_e32 v5, vcc, s3, v5
	v_addc_co_u32_e32 v6, vcc, v6, v7, vcc
	global_store_dword v[5:6], v1, off
	v_and_or_b32 v1, v12, s6, v11
	v_cmp_ne_u32_e32 vcc, 0, v1
	v_cndmask_b32_e64 v1, 0, 1, vcc
	v_lshrrev_b32_e32 v7, 8, v12
	v_bfe_u32 v11, v12, 20, 11
	v_and_or_b32 v1, v7, s7, v1
	v_sub_u32_e32 v13, 0x3f1, v11
	v_or_b32_e32 v7, 0x1000, v1
	v_med3_i32 v13, v13, 0, 13
	v_lshrrev_b32_e32 v14, v13, v7
	v_lshlrev_b32_e32 v13, v13, v14
	v_mul_f16_sdwa v9, v55, v9 dst_sel:DWORD dst_unused:UNUSED_PAD src0_sel:WORD_1 src1_sel:DWORD
	v_cmp_ne_u32_e32 vcc, v13, v7
	v_fma_f16 v9, v55, v15, -v9
	v_cndmask_b32_e64 v7, 0, 1, vcc
	v_add_u32_e32 v11, 0xfffffc10, v11
	v_cvt_f32_f16_e32 v9, v9
	v_or_b32_e32 v7, v14, v7
	v_lshl_or_b32 v13, v11, 12, v1
	v_cmp_gt_i32_e32 vcc, 1, v11
	v_cndmask_b32_e32 v7, v13, v7, vcc
	v_and_b32_e32 v13, 7, v7
	v_cmp_lt_i32_e32 vcc, 5, v13
	v_cmp_eq_u32_e64 s[0:1], 3, v13
	v_cvt_f64_f32_e32 v[13:14], v9
	v_lshrrev_b32_e32 v7, 2, v7
	s_or_b64 vcc, s[0:1], vcc
	v_addc_co_u32_e32 v7, vcc, 0, v7, vcc
	v_mul_f64 v[13:14], v[13:14], s[4:5]
	v_cmp_gt_i32_e32 vcc, 31, v11
	v_cndmask_b32_e32 v7, v2, v7, vcc
	v_cmp_ne_u32_e32 vcc, 0, v1
	v_cndmask_b32_e64 v1, 0, 1, vcc
	v_lshl_or_b32 v1, v1, 9, v2
	v_cmp_eq_u32_e32 vcc, s10, v11
	v_cndmask_b32_e32 v1, v7, v1, vcc
	v_lshrrev_b32_e32 v7, 16, v12
	v_and_or_b32 v1, v7, s11, v1
	v_and_or_b32 v7, v14, s6, v13
	v_cmp_ne_u32_e32 vcc, 0, v7
	v_cndmask_b32_e64 v7, 0, 1, vcc
	v_lshrrev_b32_e32 v9, 8, v14
	v_bfe_u32 v11, v14, 20, 11
	v_and_or_b32 v7, v9, s7, v7
	v_sub_u32_e32 v12, 0x3f1, v11
	v_or_b32_e32 v9, 0x1000, v7
	v_med3_i32 v12, v12, 0, 13
	v_lshrrev_b32_e32 v13, v12, v9
	v_lshlrev_b32_e32 v12, v12, v13
	v_cmp_ne_u32_e32 vcc, v12, v9
	v_cndmask_b32_e64 v9, 0, 1, vcc
	v_add_u32_e32 v11, 0xfffffc10, v11
	v_or_b32_e32 v9, v13, v9
	v_lshl_or_b32 v12, v11, 12, v7
	v_cmp_gt_i32_e32 vcc, 1, v11
	v_cndmask_b32_e32 v9, v12, v9, vcc
	v_and_b32_e32 v12, 7, v9
	v_lshrrev_b32_e32 v13, 16, v8
	v_cmp_lt_i32_e32 vcc, 5, v12
	v_cmp_eq_u32_e64 s[0:1], 3, v12
	v_mul_f16_sdwa v12, v54, v13 dst_sel:DWORD dst_unused:UNUSED_PAD src0_sel:WORD_1 src1_sel:DWORD
	v_fma_f16 v12, v54, v8, v12
	v_lshrrev_b32_e32 v9, 2, v9
	s_or_b64 vcc, s[0:1], vcc
	v_cvt_f32_f16_e32 v12, v12
	v_addc_co_u32_e32 v9, vcc, 0, v9, vcc
	v_cmp_gt_i32_e32 vcc, 31, v11
	v_cndmask_b32_e32 v9, v2, v9, vcc
	v_cmp_ne_u32_e32 vcc, 0, v7
	v_cndmask_b32_e64 v7, 0, 1, vcc
	v_cmp_eq_u32_e32 vcc, s10, v11
	v_cvt_f64_f32_e32 v[11:12], v12
	v_lshl_or_b32 v7, v7, 9, v2
	v_cndmask_b32_e32 v7, v9, v7, vcc
	v_lshrrev_b32_e32 v9, 16, v14
	v_mul_f64 v[11:12], v[11:12], s[4:5]
	v_and_or_b32 v7, v9, s11, v7
	v_and_b32_e32 v1, 0xffff, v1
	v_lshl_or_b32 v1, v7, 16, v1
	v_mov_b32_e32 v7, s12
	v_add_co_u32_e32 v5, vcc, s13, v5
	v_addc_co_u32_e32 v6, vcc, v6, v7, vcc
	global_store_dword v[5:6], v1, off
	v_and_or_b32 v1, v12, s6, v11
	v_cmp_ne_u32_e32 vcc, 0, v1
	v_cndmask_b32_e64 v1, 0, 1, vcc
	v_lshrrev_b32_e32 v7, 8, v12
	v_bfe_u32 v9, v12, 20, 11
	v_and_or_b32 v1, v7, s7, v1
	v_sub_u32_e32 v11, 0x3f1, v9
	v_or_b32_e32 v7, 0x1000, v1
	v_med3_i32 v11, v11, 0, 13
	v_lshrrev_b32_e32 v14, v11, v7
	v_lshlrev_b32_e32 v11, v11, v14
	v_mul_f16_sdwa v8, v54, v8 dst_sel:DWORD dst_unused:UNUSED_PAD src0_sel:WORD_1 src1_sel:DWORD
	v_cmp_ne_u32_e32 vcc, v11, v7
	v_fma_f16 v8, v54, v13, -v8
	v_cndmask_b32_e64 v7, 0, 1, vcc
	v_add_u32_e32 v9, 0xfffffc10, v9
	v_cvt_f32_f16_e32 v8, v8
	v_or_b32_e32 v7, v14, v7
	v_lshl_or_b32 v11, v9, 12, v1
	v_cmp_gt_i32_e32 vcc, 1, v9
	v_cndmask_b32_e32 v7, v11, v7, vcc
	v_and_b32_e32 v11, 7, v7
	v_cmp_lt_i32_e32 vcc, 5, v11
	v_cmp_eq_u32_e64 s[0:1], 3, v11
	v_lshrrev_b32_e32 v11, 2, v7
	v_cvt_f64_f32_e32 v[7:8], v8
	s_or_b64 vcc, s[0:1], vcc
	v_addc_co_u32_e32 v11, vcc, 0, v11, vcc
	v_mul_f64 v[7:8], v[7:8], s[4:5]
	v_cmp_gt_i32_e32 vcc, 31, v9
	v_cndmask_b32_e32 v11, v2, v11, vcc
	v_cmp_ne_u32_e32 vcc, 0, v1
	v_cndmask_b32_e64 v1, 0, 1, vcc
	v_lshl_or_b32 v1, v1, 9, v2
	v_cmp_eq_u32_e32 vcc, s10, v9
	v_cndmask_b32_e32 v1, v11, v1, vcc
	v_and_or_b32 v7, v8, s6, v7
	v_lshrrev_b32_e32 v9, 16, v12
	v_cmp_ne_u32_e32 vcc, 0, v7
	v_and_or_b32 v1, v9, s11, v1
	v_cndmask_b32_e64 v7, 0, 1, vcc
	v_lshrrev_b32_e32 v9, 8, v8
	v_bfe_u32 v11, v8, 20, 11
	v_and_or_b32 v7, v9, s7, v7
	v_sub_u32_e32 v12, 0x3f1, v11
	v_or_b32_e32 v9, 0x1000, v7
	v_med3_i32 v12, v12, 0, 13
	v_lshrrev_b32_e32 v13, v12, v9
	v_lshlrev_b32_e32 v12, v12, v13
	v_cmp_ne_u32_e32 vcc, v12, v9
	v_cndmask_b32_e64 v9, 0, 1, vcc
	v_add_u32_e32 v11, 0xfffffc10, v11
	v_or_b32_e32 v9, v13, v9
	v_lshl_or_b32 v12, v11, 12, v7
	v_cmp_gt_i32_e32 vcc, 1, v11
	v_cndmask_b32_e32 v9, v12, v9, vcc
	v_and_b32_e32 v12, 7, v9
	v_lshrrev_b32_e32 v13, 16, v10
	v_cmp_lt_i32_e32 vcc, 5, v12
	v_cmp_eq_u32_e64 s[0:1], 3, v12
	v_mul_f16_sdwa v12, v52, v13 dst_sel:DWORD dst_unused:UNUSED_PAD src0_sel:WORD_1 src1_sel:DWORD
	v_fma_f16 v12, v52, v10, v12
	v_lshrrev_b32_e32 v9, 2, v9
	s_or_b64 vcc, s[0:1], vcc
	v_cvt_f32_f16_e32 v12, v12
	v_addc_co_u32_e32 v9, vcc, 0, v9, vcc
	v_cmp_gt_i32_e32 vcc, 31, v11
	v_cndmask_b32_e32 v9, v2, v9, vcc
	v_cmp_ne_u32_e32 vcc, 0, v7
	v_cndmask_b32_e64 v7, 0, 1, vcc
	v_cmp_eq_u32_e32 vcc, s10, v11
	v_cvt_f64_f32_e32 v[11:12], v12
	v_lshl_or_b32 v7, v7, 9, v2
	v_cndmask_b32_e32 v7, v9, v7, vcc
	v_lshrrev_b32_e32 v8, 16, v8
	v_and_or_b32 v9, v8, s11, v7
	v_mul_f64 v[7:8], v[11:12], s[4:5]
	v_and_b32_e32 v1, 0xffff, v1
	v_lshl_or_b32 v1, v9, 16, v1
	v_mov_b32_e32 v9, s2
	v_add_co_u32_e32 v5, vcc, s3, v5
	v_addc_co_u32_e32 v6, vcc, v6, v9, vcc
	global_store_dword v[5:6], v1, off
	v_and_or_b32 v1, v8, s6, v7
	v_cmp_ne_u32_e32 vcc, 0, v1
	v_cndmask_b32_e64 v1, 0, 1, vcc
	v_lshrrev_b32_e32 v7, 8, v8
	v_bfe_u32 v9, v8, 20, 11
	v_and_or_b32 v1, v7, s7, v1
	v_sub_u32_e32 v11, 0x3f1, v9
	v_or_b32_e32 v7, 0x1000, v1
	v_med3_i32 v11, v11, 0, 13
	v_lshrrev_b32_e32 v12, v11, v7
	v_lshlrev_b32_e32 v11, v11, v12
	v_mul_f16_sdwa v10, v52, v10 dst_sel:DWORD dst_unused:UNUSED_PAD src0_sel:WORD_1 src1_sel:DWORD
	v_cmp_ne_u32_e32 vcc, v11, v7
	v_fma_f16 v10, v52, v13, -v10
	v_cndmask_b32_e64 v7, 0, 1, vcc
	v_add_u32_e32 v11, 0xfffffc10, v9
	v_cvt_f32_f16_e32 v10, v10
	v_or_b32_e32 v7, v12, v7
	v_lshl_or_b32 v9, v11, 12, v1
	v_cmp_gt_i32_e32 vcc, 1, v11
	v_cndmask_b32_e32 v7, v9, v7, vcc
	v_and_b32_e32 v9, 7, v7
	v_cmp_lt_i32_e32 vcc, 5, v9
	v_cmp_eq_u32_e64 s[0:1], 3, v9
	v_cvt_f64_f32_e32 v[9:10], v10
	v_lshrrev_b32_e32 v7, 2, v7
	s_or_b64 vcc, s[0:1], vcc
	v_addc_co_u32_e32 v7, vcc, 0, v7, vcc
	v_mul_f64 v[9:10], v[9:10], s[4:5]
	v_cmp_gt_i32_e32 vcc, 31, v11
	v_cndmask_b32_e32 v7, v2, v7, vcc
	v_cmp_ne_u32_e32 vcc, 0, v1
	v_cndmask_b32_e64 v1, 0, 1, vcc
	v_lshl_or_b32 v1, v1, 9, v2
	v_cmp_eq_u32_e32 vcc, s10, v11
	v_cndmask_b32_e32 v1, v7, v1, vcc
	v_lshrrev_b32_e32 v7, 16, v8
	v_and_or_b32 v1, v7, s11, v1
	v_and_or_b32 v7, v10, s6, v9
	v_cmp_ne_u32_e32 vcc, 0, v7
	v_cndmask_b32_e64 v7, 0, 1, vcc
	v_lshrrev_b32_e32 v8, 8, v10
	v_and_or_b32 v9, v8, s7, v7
	v_bfe_u32 v8, v10, 20, 11
	v_sub_u32_e32 v11, 0x3f1, v8
	v_or_b32_e32 v7, 0x1000, v9
	v_med3_i32 v11, v11, 0, 13
	v_lshrrev_b32_e32 v12, v11, v7
	v_lshlrev_b32_e32 v11, v11, v12
	v_cmp_ne_u32_e32 vcc, v11, v7
	v_cndmask_b32_e64 v7, 0, 1, vcc
	v_add_u32_e32 v11, 0xfffffc10, v8
	v_or_b32_e32 v7, v12, v7
	v_lshl_or_b32 v8, v11, 12, v9
	v_cmp_gt_i32_e32 vcc, 1, v11
	v_cndmask_b32_e32 v7, v8, v7, vcc
	v_and_b32_e32 v8, 7, v7
	v_cmp_lt_i32_e32 vcc, 5, v8
	v_cmp_eq_u32_e64 s[0:1], 3, v8
	v_lshrrev_b32_e32 v7, 2, v7
	s_or_b64 vcc, s[0:1], vcc
	v_addc_co_u32_e32 v12, vcc, 0, v7, vcc
	v_add_u32_e32 v7, 0x1c00, v48
	ds_read2_b32 v[7:8], v7 offset1:112
	v_cmp_gt_i32_e32 vcc, 31, v11
	v_cndmask_b32_e32 v12, v2, v12, vcc
	v_cmp_ne_u32_e32 vcc, 0, v9
	v_cndmask_b32_e64 v9, 0, 1, vcc
	s_waitcnt lgkmcnt(0)
	v_lshrrev_b32_e32 v13, 16, v7
	v_mul_f16_sdwa v14, v53, v13 dst_sel:DWORD dst_unused:UNUSED_PAD src0_sel:WORD_1 src1_sel:DWORD
	v_fma_f16 v14, v53, v7, v14
	v_cvt_f32_f16_e32 v14, v14
	v_lshl_or_b32 v9, v9, 9, v2
	v_cmp_eq_u32_e32 vcc, s10, v11
	v_cndmask_b32_e32 v9, v12, v9, vcc
	v_cvt_f64_f32_e32 v[11:12], v14
	v_lshrrev_b32_e32 v10, 16, v10
	v_and_or_b32 v14, v10, s11, v9
	v_and_b32_e32 v1, 0xffff, v1
	v_mul_f64 v[9:10], v[11:12], s[4:5]
	v_mov_b32_e32 v11, s12
	v_add_co_u32_e32 v5, vcc, s13, v5
	v_lshl_or_b32 v1, v14, 16, v1
	v_addc_co_u32_e32 v6, vcc, v6, v11, vcc
	global_store_dword v[5:6], v1, off
	v_and_or_b32 v1, v10, s6, v9
	v_cmp_ne_u32_e32 vcc, 0, v1
	v_cndmask_b32_e64 v1, 0, 1, vcc
	v_lshrrev_b32_e32 v9, 8, v10
	v_bfe_u32 v11, v10, 20, 11
	v_and_or_b32 v1, v9, s7, v1
	v_sub_u32_e32 v12, 0x3f1, v11
	v_or_b32_e32 v9, 0x1000, v1
	v_med3_i32 v12, v12, 0, 13
	v_lshrrev_b32_e32 v14, v12, v9
	v_lshlrev_b32_e32 v12, v12, v14
	v_cmp_ne_u32_e32 vcc, v12, v9
	v_mul_f16_sdwa v7, v53, v7 dst_sel:DWORD dst_unused:UNUSED_PAD src0_sel:WORD_1 src1_sel:DWORD
	v_cndmask_b32_e64 v9, 0, 1, vcc
	v_fma_f16 v7, v53, v13, -v7
	v_or_b32_e32 v9, v14, v9
	v_add_u32_e32 v14, 0xfffffc10, v11
	v_cvt_f32_f16_e32 v7, v7
	v_lshl_or_b32 v11, v14, 12, v1
	v_cmp_gt_i32_e32 vcc, 1, v14
	v_cndmask_b32_e32 v9, v11, v9, vcc
	v_and_b32_e32 v11, 7, v9
	v_cmp_lt_i32_e32 vcc, 5, v11
	v_cmp_eq_u32_e64 s[0:1], 3, v11
	v_cvt_f64_f32_e32 v[11:12], v7
	v_lshrrev_b32_e32 v9, 2, v9
	s_or_b64 vcc, s[0:1], vcc
	v_addc_co_u32_e32 v7, vcc, 0, v9, vcc
	v_mul_f64 v[11:12], v[11:12], s[4:5]
	v_cmp_gt_i32_e32 vcc, 31, v14
	v_cndmask_b32_e32 v7, v2, v7, vcc
	v_cmp_ne_u32_e32 vcc, 0, v1
	v_cndmask_b32_e64 v1, 0, 1, vcc
	v_lshl_or_b32 v1, v1, 9, v2
	v_cmp_eq_u32_e32 vcc, s10, v14
	v_cndmask_b32_e32 v1, v7, v1, vcc
	v_lshrrev_b32_e32 v7, 16, v10
	v_and_or_b32 v7, v7, s11, v1
	v_and_or_b32 v1, v12, s6, v11
	v_cmp_ne_u32_e32 vcc, 0, v1
	v_cndmask_b32_e64 v1, 0, 1, vcc
	v_lshrrev_b32_e32 v9, 8, v12
	v_bfe_u32 v10, v12, 20, 11
	v_and_or_b32 v1, v9, s7, v1
	v_sub_u32_e32 v11, 0x3f1, v10
	v_or_b32_e32 v9, 0x1000, v1
	v_med3_i32 v11, v11, 0, 13
	v_lshrrev_b32_e32 v13, v11, v9
	v_lshlrev_b32_e32 v11, v11, v13
	v_cmp_ne_u32_e32 vcc, v11, v9
	v_cndmask_b32_e64 v9, 0, 1, vcc
	v_add_u32_e32 v11, 0xfffffc10, v10
	v_or_b32_e32 v9, v13, v9
	v_lshl_or_b32 v10, v11, 12, v1
	v_cmp_gt_i32_e32 vcc, 1, v11
	v_cndmask_b32_e32 v9, v10, v9, vcc
	v_and_b32_e32 v10, 7, v9
	v_cmp_lt_i32_e32 vcc, 5, v10
	v_cmp_eq_u32_e64 s[0:1], 3, v10
	v_lshrrev_b32_e32 v9, 2, v9
	s_or_b64 vcc, s[0:1], vcc
	v_addc_co_u32_e32 v9, vcc, 0, v9, vcc
	v_cmp_gt_i32_e32 vcc, 31, v11
	v_cndmask_b32_e32 v13, v2, v9, vcc
	v_mad_u64_u32 v[9:10], s[0:1], s8, v51, 0
	v_cmp_ne_u32_e32 vcc, 0, v1
	v_cndmask_b32_e64 v1, 0, 1, vcc
	v_lshl_or_b32 v1, v1, 9, v2
	v_cmp_eq_u32_e32 vcc, s10, v11
	v_lshrrev_b32_e32 v14, 16, v0
	v_cndmask_b32_e32 v13, v13, v1, vcc
	v_mov_b32_e32 v1, v10
	v_mul_f16_sdwa v10, v49, v14 dst_sel:DWORD dst_unused:UNUSED_PAD src0_sel:WORD_1 src1_sel:DWORD
	v_fma_f16 v10, v49, v0, v10
	v_cvt_f32_f16_e32 v15, v10
	v_lshrrev_b32_e32 v12, 16, v12
	v_mad_u64_u32 v[10:11], s[0:1], s9, v51, v[1:2]
	v_and_or_b32 v1, v12, s11, v13
	v_cvt_f64_f32_e32 v[11:12], v15
	v_lshlrev_b64 v[9:10], 2, v[9:10]
	v_and_b32_e32 v7, 0xffff, v7
	v_add_co_u32_e32 v9, vcc, v3, v9
	v_mul_f64 v[11:12], v[11:12], s[4:5]
	v_lshl_or_b32 v1, v1, 16, v7
	v_addc_co_u32_e32 v10, vcc, v4, v10, vcc
	global_store_dword v[9:10], v1, off
	v_mul_f16_sdwa v0, v49, v0 dst_sel:DWORD dst_unused:UNUSED_PAD src0_sel:WORD_1 src1_sel:DWORD
	v_fma_f16 v0, v49, v14, -v0
	v_cvt_f32_f16_e32 v0, v0
	v_and_or_b32 v1, v12, s6, v11
	v_cmp_ne_u32_e32 vcc, 0, v1
	v_cndmask_b32_e64 v1, 0, 1, vcc
	v_lshrrev_b32_e32 v7, 8, v12
	v_bfe_u32 v9, v12, 20, 11
	v_and_or_b32 v7, v7, s7, v1
	v_sub_u32_e32 v10, 0x3f1, v9
	v_or_b32_e32 v1, 0x1000, v7
	v_med3_i32 v10, v10, 0, 13
	v_lshrrev_b32_e32 v11, v10, v1
	v_lshlrev_b32_e32 v10, v10, v11
	v_cmp_ne_u32_e32 vcc, v10, v1
	v_cndmask_b32_e64 v1, 0, 1, vcc
	v_add_u32_e32 v9, 0xfffffc10, v9
	v_or_b32_e32 v1, v11, v1
	v_lshl_or_b32 v10, v9, 12, v7
	v_cmp_gt_i32_e32 vcc, 1, v9
	v_cndmask_b32_e32 v1, v10, v1, vcc
	v_and_b32_e32 v10, 7, v1
	v_cmp_lt_i32_e32 vcc, 5, v10
	v_cmp_eq_u32_e64 s[0:1], 3, v10
	v_lshrrev_b32_e32 v10, 2, v1
	v_cvt_f64_f32_e32 v[0:1], v0
	s_or_b64 vcc, s[0:1], vcc
	v_addc_co_u32_e32 v10, vcc, 0, v10, vcc
	v_mul_f64 v[0:1], v[0:1], s[4:5]
	v_cmp_gt_i32_e32 vcc, 31, v9
	v_cndmask_b32_e32 v10, v2, v10, vcc
	v_cmp_ne_u32_e32 vcc, 0, v7
	v_cndmask_b32_e64 v7, 0, 1, vcc
	v_lshl_or_b32 v7, v7, 9, v2
	v_cmp_eq_u32_e32 vcc, s10, v9
	v_cndmask_b32_e32 v7, v10, v7, vcc
	v_and_or_b32 v0, v1, s6, v0
	v_lshrrev_b32_e32 v9, 16, v12
	v_cmp_ne_u32_e32 vcc, 0, v0
	v_and_or_b32 v7, v9, s11, v7
	v_cndmask_b32_e64 v0, 0, 1, vcc
	v_lshrrev_b32_e32 v9, 8, v1
	v_bfe_u32 v10, v1, 20, 11
	v_and_or_b32 v0, v9, s7, v0
	v_sub_u32_e32 v11, 0x3f1, v10
	v_or_b32_e32 v9, 0x1000, v0
	v_med3_i32 v11, v11, 0, 13
	v_lshrrev_b32_e32 v12, v11, v9
	v_lshlrev_b32_e32 v11, v11, v12
	v_cmp_ne_u32_e32 vcc, v11, v9
	v_cndmask_b32_e64 v9, 0, 1, vcc
	v_add_u32_e32 v11, 0xfffffc10, v10
	v_or_b32_e32 v9, v12, v9
	v_lshl_or_b32 v10, v11, 12, v0
	v_cmp_gt_i32_e32 vcc, 1, v11
	v_cndmask_b32_e32 v9, v10, v9, vcc
	v_and_b32_e32 v10, 7, v9
	v_cmp_lt_i32_e32 vcc, 5, v10
	v_cmp_eq_u32_e64 s[0:1], 3, v10
	v_lshrrev_b32_e32 v9, 2, v9
	s_or_b64 vcc, s[0:1], vcc
	v_addc_co_u32_e32 v9, vcc, 0, v9, vcc
	v_cmp_gt_i32_e32 vcc, 31, v11
	v_cndmask_b32_e32 v12, v2, v9, vcc
	v_cmp_ne_u32_e32 vcc, 0, v0
	v_cndmask_b32_e64 v0, 0, 1, vcc
	v_mad_u64_u32 v[9:10], s[0:1], s8, v50, 0
	v_lshl_or_b32 v0, v0, 9, v2
	v_cmp_eq_u32_e32 vcc, s10, v11
	v_lshrrev_b32_e32 v13, 16, v8
	v_cndmask_b32_e32 v11, v12, v0, vcc
	v_lshrrev_b32_e32 v12, 16, v1
	v_mul_f16_sdwa v1, v47, v13 dst_sel:DWORD dst_unused:UNUSED_PAD src0_sel:WORD_1 src1_sel:DWORD
	v_fma_f16 v1, v47, v8, v1
	v_mov_b32_e32 v0, v10
	v_cvt_f32_f16_e32 v10, v1
	v_mad_u64_u32 v[0:1], s[0:1], s9, v50, v[0:1]
	v_and_or_b32 v14, v12, s11, v11
	v_cvt_f64_f32_e32 v[11:12], v10
	v_mov_b32_e32 v10, v0
	v_lshlrev_b64 v[9:10], 2, v[9:10]
	v_and_b32_e32 v7, 0xffff, v7
	v_mul_f64 v[0:1], v[11:12], s[4:5]
	v_add_co_u32_e32 v3, vcc, v3, v9
	v_addc_co_u32_e32 v4, vcc, v4, v10, vcc
	v_lshl_or_b32 v7, v14, 16, v7
	global_store_dword v[3:4], v7, off
	v_mul_f16_sdwa v8, v47, v8 dst_sel:DWORD dst_unused:UNUSED_PAD src0_sel:WORD_1 src1_sel:DWORD
	v_and_or_b32 v0, v1, s6, v0
	v_cmp_ne_u32_e32 vcc, 0, v0
	v_cndmask_b32_e64 v0, 0, 1, vcc
	v_lshrrev_b32_e32 v3, 8, v1
	v_bfe_u32 v4, v1, 20, 11
	v_and_or_b32 v0, v3, s7, v0
	v_sub_u32_e32 v7, 0x3f1, v4
	v_or_b32_e32 v3, 0x1000, v0
	v_med3_i32 v7, v7, 0, 13
	v_lshrrev_b32_e32 v9, v7, v3
	v_lshlrev_b32_e32 v7, v7, v9
	v_cmp_ne_u32_e32 vcc, v7, v3
	v_fma_f16 v8, v47, v13, -v8
	v_cndmask_b32_e64 v3, 0, 1, vcc
	v_add_u32_e32 v7, 0xfffffc10, v4
	v_cvt_f32_f16_e32 v8, v8
	v_or_b32_e32 v3, v9, v3
	v_lshl_or_b32 v4, v7, 12, v0
	v_cmp_gt_i32_e32 vcc, 1, v7
	v_cndmask_b32_e32 v3, v4, v3, vcc
	v_and_b32_e32 v4, 7, v3
	v_cmp_lt_i32_e32 vcc, 5, v4
	v_cmp_eq_u32_e64 s[0:1], 3, v4
	v_lshrrev_b32_e32 v9, 2, v3
	v_cvt_f64_f32_e32 v[3:4], v8
	s_or_b64 vcc, s[0:1], vcc
	v_addc_co_u32_e32 v8, vcc, 0, v9, vcc
	v_mul_f64 v[3:4], v[3:4], s[4:5]
	v_cmp_gt_i32_e32 vcc, 31, v7
	v_cndmask_b32_e32 v8, v2, v8, vcc
	v_cmp_ne_u32_e32 vcc, 0, v0
	v_cndmask_b32_e64 v0, 0, 1, vcc
	v_lshl_or_b32 v0, v0, 9, v2
	v_cmp_eq_u32_e32 vcc, s10, v7
	v_cndmask_b32_e32 v0, v8, v0, vcc
	v_lshrrev_b32_e32 v1, 16, v1
	v_and_or_b32 v7, v1, s11, v0
	v_and_or_b32 v0, v4, s6, v3
	v_cmp_ne_u32_e32 vcc, 0, v0
	v_cndmask_b32_e64 v0, 0, 1, vcc
	v_lshrrev_b32_e32 v1, 8, v4
	v_bfe_u32 v3, v4, 20, 11
	v_and_or_b32 v0, v1, s7, v0
	v_sub_u32_e32 v8, 0x3f1, v3
	v_or_b32_e32 v1, 0x1000, v0
	v_med3_i32 v8, v8, 0, 13
	v_lshrrev_b32_e32 v9, v8, v1
	v_lshlrev_b32_e32 v8, v8, v9
	v_cmp_ne_u32_e32 vcc, v8, v1
	v_cndmask_b32_e64 v1, 0, 1, vcc
	v_add_u32_e32 v3, 0xfffffc10, v3
	v_or_b32_e32 v1, v9, v1
	v_lshl_or_b32 v8, v3, 12, v0
	v_cmp_gt_i32_e32 vcc, 1, v3
	v_cndmask_b32_e32 v1, v8, v1, vcc
	v_and_b32_e32 v8, 7, v1
	v_cmp_lt_i32_e32 vcc, 5, v8
	v_cmp_eq_u32_e64 s[0:1], 3, v8
	v_lshrrev_b32_e32 v1, 2, v1
	s_or_b64 vcc, s[0:1], vcc
	v_addc_co_u32_e32 v1, vcc, 0, v1, vcc
	v_cmp_gt_i32_e32 vcc, 31, v3
	v_cndmask_b32_e32 v1, v2, v1, vcc
	v_cmp_ne_u32_e32 vcc, 0, v0
	v_cndmask_b32_e64 v0, 0, 1, vcc
	v_lshl_or_b32 v0, v0, 9, v2
	v_cmp_eq_u32_e32 vcc, s10, v3
	v_cndmask_b32_e32 v0, v1, v0, vcc
	v_lshrrev_b32_e32 v1, 16, v4
	v_and_or_b32 v2, v1, s11, v0
	v_mov_b32_e32 v0, 0x1180
	v_mad_u64_u32 v[0:1], s[0:1], s8, v0, v[5:6]
	v_and_b32_e32 v3, 0xffff, v7
	s_mul_i32 s0, s9, 0x1180
	v_lshl_or_b32 v2, v2, 16, v3
	v_add_u32_e32 v1, s0, v1
	global_store_dword v[0:1], v2, off
.LBB0_10:
	s_endpgm
	.section	.rodata,"a",@progbits
	.p2align	6, 0x0
	.amdhsa_kernel bluestein_single_fwd_len2016_dim1_half_op_CI_CI
		.amdhsa_group_segment_fixed_size 16128
		.amdhsa_private_segment_fixed_size 0
		.amdhsa_kernarg_size 104
		.amdhsa_user_sgpr_count 6
		.amdhsa_user_sgpr_private_segment_buffer 1
		.amdhsa_user_sgpr_dispatch_ptr 0
		.amdhsa_user_sgpr_queue_ptr 0
		.amdhsa_user_sgpr_kernarg_segment_ptr 1
		.amdhsa_user_sgpr_dispatch_id 0
		.amdhsa_user_sgpr_flat_scratch_init 0
		.amdhsa_user_sgpr_private_segment_size 0
		.amdhsa_uses_dynamic_stack 0
		.amdhsa_system_sgpr_private_segment_wavefront_offset 0
		.amdhsa_system_sgpr_workgroup_id_x 1
		.amdhsa_system_sgpr_workgroup_id_y 0
		.amdhsa_system_sgpr_workgroup_id_z 0
		.amdhsa_system_sgpr_workgroup_info 0
		.amdhsa_system_vgpr_workitem_id 0
		.amdhsa_next_free_vgpr 197
		.amdhsa_next_free_sgpr 20
		.amdhsa_reserve_vcc 1
		.amdhsa_reserve_flat_scratch 0
		.amdhsa_float_round_mode_32 0
		.amdhsa_float_round_mode_16_64 0
		.amdhsa_float_denorm_mode_32 3
		.amdhsa_float_denorm_mode_16_64 3
		.amdhsa_dx10_clamp 1
		.amdhsa_ieee_mode 1
		.amdhsa_fp16_overflow 0
		.amdhsa_exception_fp_ieee_invalid_op 0
		.amdhsa_exception_fp_denorm_src 0
		.amdhsa_exception_fp_ieee_div_zero 0
		.amdhsa_exception_fp_ieee_overflow 0
		.amdhsa_exception_fp_ieee_underflow 0
		.amdhsa_exception_fp_ieee_inexact 0
		.amdhsa_exception_int_div_zero 0
	.end_amdhsa_kernel
	.text
.Lfunc_end0:
	.size	bluestein_single_fwd_len2016_dim1_half_op_CI_CI, .Lfunc_end0-bluestein_single_fwd_len2016_dim1_half_op_CI_CI
                                        ; -- End function
	.section	.AMDGPU.csdata,"",@progbits
; Kernel info:
; codeLenInByte = 31952
; NumSgprs: 24
; NumVgprs: 197
; ScratchSize: 0
; MemoryBound: 0
; FloatMode: 240
; IeeeMode: 1
; LDSByteSize: 16128 bytes/workgroup (compile time only)
; SGPRBlocks: 2
; VGPRBlocks: 49
; NumSGPRsForWavesPerEU: 24
; NumVGPRsForWavesPerEU: 197
; Occupancy: 1
; WaveLimiterHint : 1
; COMPUTE_PGM_RSRC2:SCRATCH_EN: 0
; COMPUTE_PGM_RSRC2:USER_SGPR: 6
; COMPUTE_PGM_RSRC2:TRAP_HANDLER: 0
; COMPUTE_PGM_RSRC2:TGID_X_EN: 1
; COMPUTE_PGM_RSRC2:TGID_Y_EN: 0
; COMPUTE_PGM_RSRC2:TGID_Z_EN: 0
; COMPUTE_PGM_RSRC2:TIDIG_COMP_CNT: 0
	.type	__hip_cuid_f982cca674a2ef70,@object ; @__hip_cuid_f982cca674a2ef70
	.section	.bss,"aw",@nobits
	.globl	__hip_cuid_f982cca674a2ef70
__hip_cuid_f982cca674a2ef70:
	.byte	0                               ; 0x0
	.size	__hip_cuid_f982cca674a2ef70, 1

	.ident	"AMD clang version 19.0.0git (https://github.com/RadeonOpenCompute/llvm-project roc-6.4.0 25133 c7fe45cf4b819c5991fe208aaa96edf142730f1d)"
	.section	".note.GNU-stack","",@progbits
	.addrsig
	.addrsig_sym __hip_cuid_f982cca674a2ef70
	.amdgpu_metadata
---
amdhsa.kernels:
  - .args:
      - .actual_access:  read_only
        .address_space:  global
        .offset:         0
        .size:           8
        .value_kind:     global_buffer
      - .actual_access:  read_only
        .address_space:  global
        .offset:         8
        .size:           8
        .value_kind:     global_buffer
      - .actual_access:  read_only
        .address_space:  global
        .offset:         16
        .size:           8
        .value_kind:     global_buffer
      - .actual_access:  read_only
        .address_space:  global
        .offset:         24
        .size:           8
        .value_kind:     global_buffer
      - .actual_access:  read_only
        .address_space:  global
        .offset:         32
        .size:           8
        .value_kind:     global_buffer
      - .offset:         40
        .size:           8
        .value_kind:     by_value
      - .address_space:  global
        .offset:         48
        .size:           8
        .value_kind:     global_buffer
      - .address_space:  global
        .offset:         56
        .size:           8
        .value_kind:     global_buffer
      - .address_space:  global
        .offset:         64
        .size:           8
        .value_kind:     global_buffer
      - .address_space:  global
        .offset:         72
        .size:           8
        .value_kind:     global_buffer
      - .offset:         80
        .size:           4
        .value_kind:     by_value
      - .address_space:  global
        .offset:         88
        .size:           8
        .value_kind:     global_buffer
      - .address_space:  global
        .offset:         96
        .size:           8
        .value_kind:     global_buffer
    .group_segment_fixed_size: 16128
    .kernarg_segment_align: 8
    .kernarg_segment_size: 104
    .language:       OpenCL C
    .language_version:
      - 2
      - 0
    .max_flat_workgroup_size: 224
    .name:           bluestein_single_fwd_len2016_dim1_half_op_CI_CI
    .private_segment_fixed_size: 0
    .sgpr_count:     24
    .sgpr_spill_count: 0
    .symbol:         bluestein_single_fwd_len2016_dim1_half_op_CI_CI.kd
    .uniform_work_group_size: 1
    .uses_dynamic_stack: false
    .vgpr_count:     197
    .vgpr_spill_count: 0
    .wavefront_size: 64
amdhsa.target:   amdgcn-amd-amdhsa--gfx906
amdhsa.version:
  - 1
  - 2
...

	.end_amdgpu_metadata
